;; amdgpu-corpus repo=ROCm/rocFFT kind=compiled arch=gfx906 opt=O3
	.text
	.amdgcn_target "amdgcn-amd-amdhsa--gfx906"
	.amdhsa_code_object_version 6
	.protected	bluestein_single_fwd_len1215_dim1_half_op_CI_CI ; -- Begin function bluestein_single_fwd_len1215_dim1_half_op_CI_CI
	.globl	bluestein_single_fwd_len1215_dim1_half_op_CI_CI
	.p2align	8
	.type	bluestein_single_fwd_len1215_dim1_half_op_CI_CI,@function
bluestein_single_fwd_len1215_dim1_half_op_CI_CI: ; @bluestein_single_fwd_len1215_dim1_half_op_CI_CI
; %bb.0:
	s_load_dwordx4 s[8:11], s[4:5], 0x28
	v_mul_u32_u24_e32 v3, 0x10e, v0
	v_add_u32_sdwa v1, s6, v3 dst_sel:DWORD dst_unused:UNUSED_PAD src0_sel:DWORD src1_sel:WORD_1
	v_mov_b32_e32 v2, 0
	s_waitcnt lgkmcnt(0)
	v_cmp_gt_u64_e32 vcc, s[8:9], v[1:2]
	s_and_saveexec_b64 s[0:1], vcc
	s_cbranch_execz .LBB0_42
; %bb.1:
	s_load_dwordx4 s[0:3], s[4:5], 0x18
	s_load_dwordx4 s[12:15], s[4:5], 0x0
	s_mov_b32 s6, 0xffff
	s_movk_i32 s7, 0x34f2
	s_waitcnt lgkmcnt(0)
	s_load_dwordx4 s[16:19], s[0:1], 0x0
	s_movk_i32 s0, 0xf3
	v_mul_lo_u16_sdwa v2, v3, s0 dst_sel:DWORD dst_unused:UNUSED_PAD src0_sel:WORD_1 src1_sel:DWORD
	v_sub_u16_e32 v26, v0, v2
	s_waitcnt lgkmcnt(0)
	v_mad_u64_u32 v[2:3], s[0:1], s18, v1, 0
	v_mad_u64_u32 v[4:5], s[0:1], s16, v26, 0
	v_mov_b32_e32 v0, v3
	v_mov_b32_e32 v3, v5
	v_mad_u64_u32 v[5:6], s[0:1], s19, v1, v[0:1]
	v_mad_u64_u32 v[6:7], s[0:1], s17, v26, v[3:4]
	v_mov_b32_e32 v3, v5
	v_lshlrev_b64 v[2:3], 2, v[2:3]
	v_mov_b32_e32 v0, s11
	v_mov_b32_e32 v5, v6
	v_add_co_u32_e32 v6, vcc, s10, v2
	v_addc_co_u32_e32 v0, vcc, v0, v3, vcc
	v_lshlrev_b64 v[2:3], 2, v[4:5]
	s_mul_i32 s0, s17, 0x3cc
	v_add_co_u32_e32 v2, vcc, v6, v2
	s_mul_hi_u32 s1, s16, 0x3cc
	v_addc_co_u32_e32 v3, vcc, v0, v3, vcc
	s_add_i32 s0, s1, s0
	s_mul_i32 s1, s16, 0x3cc
	v_mov_b32_e32 v5, s0
	v_add_co_u32_e32 v4, vcc, s1, v2
	v_addc_co_u32_e32 v5, vcc, v3, v5, vcc
	v_lshlrev_b32_e32 v0, 2, v26
	global_load_dword v6, v[2:3], off
	global_load_dword v7, v[4:5], off
	global_load_dword v27, v0, s[12:13]
	global_load_dword v25, v0, s[12:13] offset:972
	v_mov_b32_e32 v3, s0
	v_add_co_u32_e32 v2, vcc, s1, v4
	v_addc_co_u32_e32 v3, vcc, v5, v3, vcc
	global_load_dword v4, v[2:3], off
	global_load_dword v24, v0, s[12:13] offset:1944
	v_mov_b32_e32 v5, s0
	v_add_co_u32_e32 v2, vcc, s1, v2
	v_addc_co_u32_e32 v3, vcc, v3, v5, vcc
	global_load_dword v5, v[2:3], off
	;; [unrolled: 5-line block ×3, first 2 shown]
	global_load_dword v22, v0, s[12:13] offset:3888
	v_add_u32_e32 v9, 0x780, v0
	s_load_dwordx4 s[8:11], s[2:3], 0x0
	s_movk_i32 s0, 0x3b9c
	s_movk_i32 s1, 0x38b4
	s_load_dwordx2 s[2:3], s[4:5], 0x38
	s_waitcnt vmcnt(9)
	v_lshrrev_b32_e32 v2, 16, v6
	s_waitcnt vmcnt(7)
	v_mul_f16_sdwa v3, v27, v6 dst_sel:DWORD dst_unused:UNUSED_PAD src0_sel:WORD_1 src1_sel:DWORD
	v_mul_f16_sdwa v10, v27, v2 dst_sel:DWORD dst_unused:UNUSED_PAD src0_sel:WORD_1 src1_sel:DWORD
	v_fma_f16 v2, v27, v2, -v3
	v_lshrrev_b32_e32 v3, 16, v7
	s_waitcnt vmcnt(6)
	v_mul_f16_sdwa v11, v25, v7 dst_sel:DWORD dst_unused:UNUSED_PAD src0_sel:WORD_1 src1_sel:DWORD
	v_fma_f16 v6, v27, v6, v10
	v_mul_f16_sdwa v10, v25, v3 dst_sel:DWORD dst_unused:UNUSED_PAD src0_sel:WORD_1 src1_sel:DWORD
	v_fma_f16 v3, v25, v3, -v11
	s_waitcnt vmcnt(5)
	v_lshrrev_b32_e32 v11, 16, v4
	s_waitcnt vmcnt(4)
	v_mul_f16_sdwa v12, v24, v4 dst_sel:DWORD dst_unused:UNUSED_PAD src0_sel:WORD_1 src1_sel:DWORD
	v_pack_b32_f16 v2, v6, v2
	v_fma_f16 v6, v25, v7, v10
	v_mul_f16_sdwa v7, v24, v11 dst_sel:DWORD dst_unused:UNUSED_PAD src0_sel:WORD_1 src1_sel:DWORD
	v_fma_f16 v10, v24, v11, -v12
	s_waitcnt vmcnt(3)
	v_lshrrev_b32_e32 v11, 16, v5
	s_waitcnt vmcnt(2)
	v_mul_f16_sdwa v12, v23, v5 dst_sel:DWORD dst_unused:UNUSED_PAD src0_sel:WORD_1 src1_sel:DWORD
	v_pack_b32_f16 v3, v6, v3
	v_fma_f16 v4, v24, v4, v7
	v_mul_f16_sdwa v6, v23, v11 dst_sel:DWORD dst_unused:UNUSED_PAD src0_sel:WORD_1 src1_sel:DWORD
	v_fma_f16 v7, v23, v11, -v12
	s_waitcnt vmcnt(1)
	v_lshrrev_b32_e32 v11, 16, v8
	s_waitcnt vmcnt(0)
	v_mul_f16_sdwa v12, v22, v8 dst_sel:DWORD dst_unused:UNUSED_PAD src0_sel:WORD_1 src1_sel:DWORD
	ds_write2_b32 v0, v2, v3 offset1:243
	v_pack_b32_f16 v2, v4, v10
	v_fma_f16 v3, v23, v5, v6
	v_mul_f16_sdwa v4, v22, v11 dst_sel:DWORD dst_unused:UNUSED_PAD src0_sel:WORD_1 src1_sel:DWORD
	v_fma_f16 v5, v22, v11, -v12
	v_pack_b32_f16 v3, v3, v7
	v_fma_f16 v4, v22, v8, v4
	ds_write2_b32 v9, v2, v3 offset0:6 offset1:249
	v_pack_b32_f16 v2, v4, v5
	ds_write_b32 v0, v2 offset:3888
	s_waitcnt lgkmcnt(0)
	s_barrier
	ds_read2_b32 v[2:3], v0 offset1:243
	ds_read2_b32 v[4:5], v9 offset0:6 offset1:249
	ds_read_b32 v6, v0 offset:3888
	v_mul_lo_u16_e32 v7, 5, v26
	v_lshlrev_b32_e32 v28, 2, v7
	s_waitcnt lgkmcnt(2)
	v_pk_add_f16 v7, v2, v3
	s_waitcnt lgkmcnt(1)
	v_pk_add_f16 v8, v4, v5
	s_waitcnt lgkmcnt(0)
	v_pk_add_f16 v9, v3, v6 neg_lo:[0,1] neg_hi:[0,1]
	v_pk_add_f16 v10, v4, v5 neg_lo:[0,1] neg_hi:[0,1]
	;; [unrolled: 1-line block ×4, first 2 shown]
	v_pk_fma_f16 v8, v8, 0.5, v2 op_sel_hi:[1,0,1] neg_lo:[1,0,0] neg_hi:[1,0,0]
	v_pk_mul_f16 v13, v9, s0 op_sel_hi:[1,0]
	v_pk_add_f16 v11, v11, v12
	v_pk_mul_f16 v12, v10, s1 op_sel_hi:[1,0]
	v_pk_add_f16 v14, v8, v13 op_sel:[0,1] op_sel_hi:[1,0]
	v_pk_add_f16 v8, v8, v13 op_sel:[0,1] op_sel_hi:[1,0] neg_lo:[0,1] neg_hi:[0,1]
	v_pk_add_f16 v13, v14, v12 op_sel:[0,1] op_sel_hi:[1,0]
	v_pk_add_f16 v8, v8, v12 op_sel:[0,1] op_sel_hi:[1,0] neg_lo:[0,1] neg_hi:[0,1]
	v_pk_add_f16 v7, v7, v4
	v_pk_add_f16 v7, v7, v5
	v_bfi_b32 v12, s6, v13, v8
	v_pk_add_f16 v7, v7, v6
	v_pk_fma_f16 v12, v11, s7, v12 op_sel_hi:[1,0,1]
	s_barrier
	ds_write2_b32 v28, v7, v12 offset1:1
	v_pk_add_f16 v7, v3, v6
	v_pk_add_f16 v3, v4, v3 neg_lo:[0,1] neg_hi:[0,1]
	v_pk_add_f16 v4, v5, v6 neg_lo:[0,1] neg_hi:[0,1]
	v_pk_fma_f16 v2, v7, 0.5, v2 op_sel_hi:[1,0,1] neg_lo:[1,0,0] neg_hi:[1,0,0]
	v_pk_add_f16 v3, v3, v4
	v_pk_mul_f16 v4, v10, s0 op_sel_hi:[1,0]
	v_pk_mul_f16 v5, v9, s1 op_sel_hi:[1,0]
	v_pk_add_f16 v6, v2, v4 op_sel:[0,1] op_sel_hi:[1,0] neg_lo:[0,1] neg_hi:[0,1]
	v_pk_add_f16 v2, v2, v4 op_sel:[0,1] op_sel_hi:[1,0]
	v_pk_add_f16 v4, v6, v5 op_sel:[0,1] op_sel_hi:[1,0]
	v_pk_add_f16 v2, v2, v5 op_sel:[0,1] op_sel_hi:[1,0] neg_lo:[0,1] neg_hi:[0,1]
	v_bfi_b32 v5, s6, v4, v2
	v_bfi_b32 v2, s6, v2, v4
	v_pk_fma_f16 v6, v3, s7, v2 op_sel_hi:[1,0,1]
	v_bfi_b32 v2, s6, v8, v13
	v_pk_fma_f16 v5, v3, s7, v5 op_sel_hi:[1,0,1]
	v_pk_fma_f16 v9, v11, s7, v2 op_sel_hi:[1,0,1]
	ds_write2_b32 v28, v5, v6 offset0:2 offset1:3
	ds_write_b32 v28, v9 offset:16
	s_waitcnt lgkmcnt(0)
	s_barrier
	ds_read_b32 v7, v0
	ds_read_b32 v11, v0 offset:1620
	ds_read_b32 v10, v0 offset:3240
	s_movk_i32 s0, 0xa2
	v_lshrrev_b32_e32 v8, 16, v6
	v_cmp_gt_u16_e64 s[0:1], s0, v26
	v_lshrrev_b32_e32 v12, 16, v9
                                        ; implicit-def: $vgpr13
                                        ; implicit-def: $vgpr14
	s_and_saveexec_b64 s[4:5], s[0:1]
	s_cbranch_execz .LBB0_3
; %bb.2:
	ds_read_b32 v6, v0 offset:972
	ds_read_b32 v9, v0 offset:2592
	;; [unrolled: 1-line block ×3, first 2 shown]
	s_waitcnt lgkmcnt(2)
	v_lshrrev_b32_e32 v8, 16, v6
	s_waitcnt lgkmcnt(1)
	v_lshrrev_b32_e32 v12, 16, v9
	;; [unrolled: 2-line block ×3, first 2 shown]
.LBB0_3:
	s_or_b64 exec, exec, s[4:5]
	s_movk_i32 s4, 0xcd
	v_mul_lo_u16_sdwa v2, v26, s4 dst_sel:DWORD dst_unused:UNUSED_PAD src0_sel:BYTE_0 src1_sel:DWORD
	v_lshrrev_b16_e32 v15, 10, v2
	v_add_co_u32_e32 v18, vcc, 0xf3, v26
	s_mov_b32 s4, 0xcccd
	v_mul_lo_u16_e32 v2, 5, v15
	v_mul_u32_u24_sdwa v3, v18, s4 dst_sel:DWORD dst_unused:UNUSED_PAD src0_sel:WORD_0 src1_sel:DWORD
	v_sub_u16_e32 v2, v26, v2
	v_lshrrev_b32_e32 v29, 18, v3
	v_and_b32_e32 v16, 0xff, v2
	v_mul_lo_u16_e32 v3, 5, v29
	v_lshlrev_b32_e32 v2, 3, v16
	v_sub_u16_e32 v30, v18, v3
	global_load_dwordx2 v[4:5], v2, s[14:15]
	v_lshlrev_b16_e32 v2, 1, v30
	v_lshlrev_b32_e32 v2, 2, v2
	global_load_dwordx2 v[2:3], v2, s[14:15]
	s_waitcnt lgkmcnt(1)
	v_lshrrev_b32_e32 v17, 16, v11
	s_waitcnt lgkmcnt(0)
	v_lshrrev_b32_e32 v20, 16, v10
	v_mul_u32_u24_e32 v15, 15, v15
	v_add_lshl_u32 v31, v15, v16, 2
	v_lshrrev_b32_e32 v21, 16, v7
	s_movk_i32 s6, 0x3aee
	s_mov_b32 s7, 0xbaee
	v_addc_co_u32_e64 v19, s[4:5], 0, 0, vcc
	s_waitcnt vmcnt(0)
	s_barrier
	v_mul_f16_sdwa v15, v17, v4 dst_sel:DWORD dst_unused:UNUSED_PAD src0_sel:DWORD src1_sel:WORD_1
	v_mul_f16_sdwa v16, v11, v4 dst_sel:DWORD dst_unused:UNUSED_PAD src0_sel:DWORD src1_sel:WORD_1
	;; [unrolled: 1-line block ×8, first 2 shown]
	v_fma_f16 v11, v11, v4, -v15
	v_fma_f16 v15, v17, v4, v16
	v_fma_f16 v10, v10, v5, -v32
	v_fma_f16 v16, v20, v5, v33
	;; [unrolled: 2-line block ×4, first 2 shown]
	v_add_f16_e32 v17, v7, v11
	v_add_f16_e32 v20, v11, v10
	v_sub_f16_e32 v32, v11, v10
	v_sub_f16_e32 v33, v15, v16
	v_add_f16_e32 v11, v21, v15
	v_add_f16_e32 v15, v15, v16
	;; [unrolled: 1-line block ×3, first 2 shown]
	v_sub_f16_e32 v36, v12, v14
	v_add_f16_e32 v37, v8, v12
	v_add_f16_e32 v12, v12, v14
	v_fma_f16 v7, v20, -0.5, v7
	v_fma_f16 v15, v15, -0.5, v21
	v_add_f16_e32 v34, v6, v9
	v_sub_f16_e32 v9, v9, v13
	v_add_f16_e32 v17, v17, v10
	v_add_f16_e32 v20, v11, v16
	v_fma_f16 v6, v35, -0.5, v6
	v_add_f16_e32 v11, v37, v14
	v_fma_f16 v8, v12, -0.5, v8
	v_fma_f16 v14, v33, s6, v7
	v_fma_f16 v21, v32, s7, v15
	v_add_f16_e32 v10, v34, v13
	v_fma_f16 v7, v33, s7, v7
	v_fma_f16 v32, v32, s6, v15
	;; [unrolled: 1-line block ×6, first 2 shown]
	v_pack_b32_f16 v6, v17, v20
	v_pack_b32_f16 v8, v14, v21
	v_pack_b32_f16 v7, v7, v32
	ds_write2_b32 v31, v6, v8 offset1:5
	ds_write_b32 v31, v7 offset:40
	s_and_saveexec_b64 s[4:5], s[0:1]
	s_cbranch_execz .LBB0_5
; %bb.4:
	v_mad_legacy_u16 v6, v29, 15, v30
	s_mov_b32 s6, 0x5040100
	v_lshlrev_b32_e32 v6, 2, v6
	v_perm_b32 v7, v11, v10, s6
	v_perm_b32 v8, v15, v12, s6
	ds_write2_b32 v6, v7, v8 offset1:5
	v_perm_b32 v7, v16, v13, s6
	ds_write_b32 v6, v7 offset:40
.LBB0_5:
	s_or_b64 exec, exec, s[4:5]
	s_waitcnt lgkmcnt(0)
	s_barrier
	ds_read_b32 v14, v0
	ds_read_b32 v20, v0 offset:1620
	ds_read_b32 v17, v0 offset:3240
	s_and_saveexec_b64 s[4:5], s[0:1]
	s_cbranch_execz .LBB0_7
; %bb.6:
	ds_read_b32 v10, v0 offset:972
	ds_read_b32 v12, v0 offset:2592
	;; [unrolled: 1-line block ×3, first 2 shown]
	s_waitcnt lgkmcnt(2)
	v_lshrrev_b32_e32 v11, 16, v10
	s_waitcnt lgkmcnt(1)
	v_lshrrev_b32_e32 v15, 16, v12
	;; [unrolled: 2-line block ×3, first 2 shown]
.LBB0_7:
	s_or_b64 exec, exec, s[4:5]
	s_movk_i32 s4, 0x89
	v_mul_lo_u16_sdwa v6, v26, s4 dst_sel:DWORD dst_unused:UNUSED_PAD src0_sel:BYTE_0 src1_sel:DWORD
	s_mov_b32 s4, 0x8889
	v_mul_u32_u24_sdwa v8, v18, s4 dst_sel:DWORD dst_unused:UNUSED_PAD src0_sel:WORD_0 src1_sel:DWORD
	v_lshrrev_b16_e32 v21, 11, v6
	v_lshrrev_b32_e32 v33, 19, v8
	v_mul_lo_u16_e32 v6, 15, v21
	v_mul_lo_u16_e32 v8, 15, v33
	v_sub_u16_e32 v6, v26, v6
	v_sub_u16_e32 v34, v18, v8
	v_and_b32_e32 v32, 0xff, v6
	v_lshlrev_b16_e32 v8, 3, v34
	v_lshlrev_b32_e32 v6, 3, v32
	v_mov_b32_e32 v9, s15
	v_add_co_u32_e32 v8, vcc, s14, v8
	global_load_dwordx2 v[6:7], v6, s[14:15] offset:40
	v_addc_co_u32_e32 v9, vcc, 0, v9, vcc
	global_load_dwordx2 v[8:9], v[8:9], off offset:40
	s_waitcnt lgkmcnt(1)
	v_lshrrev_b32_e32 v36, 16, v20
	s_waitcnt lgkmcnt(0)
	v_lshrrev_b32_e32 v37, 16, v17
	v_mul_u32_u24_e32 v21, 45, v21
	v_add_lshl_u32 v32, v21, v32, 2
	v_lshrrev_b32_e32 v35, 16, v14
	s_movk_i32 s4, 0x3aee
	s_mov_b32 s5, 0xbaee
	s_waitcnt vmcnt(0)
	s_barrier
	v_mul_f16_sdwa v21, v36, v6 dst_sel:DWORD dst_unused:UNUSED_PAD src0_sel:DWORD src1_sel:WORD_1
	v_mul_f16_sdwa v38, v20, v6 dst_sel:DWORD dst_unused:UNUSED_PAD src0_sel:DWORD src1_sel:WORD_1
	;; [unrolled: 1-line block ×8, first 2 shown]
	v_fma_f16 v20, v20, v6, -v21
	v_fma_f16 v21, v36, v6, v38
	v_fma_f16 v17, v17, v7, -v39
	v_fma_f16 v36, v37, v7, v40
	;; [unrolled: 2-line block ×4, first 2 shown]
	v_add_f16_e32 v37, v14, v20
	v_add_f16_e32 v38, v20, v17
	v_sub_f16_e32 v39, v21, v36
	v_add_f16_e32 v40, v35, v21
	v_add_f16_e32 v21, v21, v36
	v_sub_f16_e32 v20, v20, v17
	v_add_f16_e32 v41, v10, v12
	v_add_f16_e32 v42, v12, v13
	;; [unrolled: 1-line block ×4, first 2 shown]
	v_fma_f16 v37, v38, -0.5, v14
	v_fma_f16 v21, v21, -0.5, v35
	v_sub_f16_e32 v43, v15, v16
	v_add_f16_e32 v44, v11, v15
	v_sub_f16_e32 v12, v12, v13
	v_add_f16_e32 v36, v40, v36
	v_add_f16_e32 v14, v41, v13
	v_fma_f16 v10, v42, -0.5, v10
	v_fma_f16 v11, v45, -0.5, v11
	v_fma_f16 v13, v39, s4, v37
	v_fma_f16 v35, v20, s5, v21
	v_add_f16_e32 v15, v44, v16
	v_fma_f16 v16, v39, s5, v37
	v_fma_f16 v37, v20, s4, v21
	v_fma_f16 v20, v43, s4, v10
	v_fma_f16 v21, v43, s5, v10
	v_fma_f16 v38, v12, s5, v11
	v_fma_f16 v39, v12, s4, v11
	v_pack_b32_f16 v10, v17, v36
	v_pack_b32_f16 v11, v13, v35
	v_mad_legacy_u16 v35, v33, 45, v34
	v_pack_b32_f16 v12, v16, v37
	ds_write2_b32 v32, v10, v11 offset1:15
	ds_write_b32 v32, v12 offset:120
	s_and_saveexec_b64 s[4:5], s[0:1]
	s_cbranch_execz .LBB0_9
; %bb.8:
	s_mov_b32 s6, 0x5040100
	v_lshlrev_b32_e32 v10, 2, v35
	v_perm_b32 v11, v15, v14, s6
	v_perm_b32 v12, v38, v20, s6
	ds_write2_b32 v10, v11, v12 offset1:15
	v_perm_b32 v11, v39, v21, s6
	ds_write_b32 v10, v11 offset:120
.LBB0_9:
	s_or_b64 exec, exec, s[4:5]
	s_waitcnt lgkmcnt(0)
	s_barrier
	ds_read_b32 v16, v0
	ds_read_b32 v37, v0 offset:1620
	ds_read_b32 v17, v0 offset:3240
	s_and_saveexec_b64 s[4:5], s[0:1]
	s_cbranch_execz .LBB0_11
; %bb.10:
	ds_read_b32 v14, v0 offset:972
	ds_read_b32 v20, v0 offset:2592
	;; [unrolled: 1-line block ×3, first 2 shown]
	s_waitcnt lgkmcnt(2)
	v_lshrrev_b32_e32 v15, 16, v14
	s_waitcnt lgkmcnt(1)
	v_lshrrev_b32_e32 v38, 16, v20
	;; [unrolled: 2-line block ×3, first 2 shown]
.LBB0_11:
	s_or_b64 exec, exec, s[4:5]
	s_movk_i32 s4, 0x2d83
	v_mul_u32_u24_sdwa v10, v18, s4 dst_sel:DWORD dst_unused:UNUSED_PAD src0_sel:WORD_0 src1_sel:DWORD
	s_movk_i32 s4, 0x6d
	v_mul_lo_u16_sdwa v12, v26, s4 dst_sel:DWORD dst_unused:UNUSED_PAD src0_sel:BYTE_0 src1_sel:DWORD
	v_sub_u16_sdwa v13, v26, v12 dst_sel:DWORD dst_unused:UNUSED_PAD src0_sel:DWORD src1_sel:BYTE_1
	v_lshrrev_b32_e32 v33, 19, v10
	v_lshrrev_b16_e32 v13, 1, v13
	v_mul_lo_u16_e32 v10, 45, v33
	v_and_b32_e32 v13, 0x7f, v13
	v_sub_u16_e32 v34, v18, v10
	v_add_u16_sdwa v12, v13, v12 dst_sel:DWORD dst_unused:UNUSED_PAD src0_sel:DWORD src1_sel:BYTE_1
	v_lshlrev_b16_e32 v10, 3, v34
	v_lshrrev_b16_e32 v36, 5, v12
	v_mov_b32_e32 v11, s15
	v_add_co_u32_e32 v10, vcc, s14, v10
	v_mul_lo_u16_e32 v12, 45, v36
	v_addc_co_u32_e32 v11, vcc, 0, v11, vcc
	v_sub_u16_e32 v12, v26, v12
	global_load_dwordx2 v[10:11], v[10:11], off offset:160
	v_and_b32_e32 v40, 0xff, v12
	v_lshlrev_b32_e32 v12, 3, v40
	global_load_dwordx2 v[12:13], v12, s[14:15] offset:160
	v_mul_u32_u24_e32 v36, 0x87, v36
	v_add_lshl_u32 v36, v36, v40, 2
	s_waitcnt lgkmcnt(1)
	v_lshrrev_b32_e32 v41, 16, v37
	s_waitcnt lgkmcnt(0)
	v_lshrrev_b32_e32 v42, 16, v17
	v_lshrrev_b32_e32 v44, 16, v16
	s_movk_i32 s4, 0x3aee
	s_mov_b32 s5, 0xbaee
	s_movk_i32 s6, 0x87
	s_waitcnt vmcnt(0)
	s_barrier
	v_mul_f16_sdwa v40, v38, v10 dst_sel:DWORD dst_unused:UNUSED_PAD src0_sel:DWORD src1_sel:WORD_1
	v_mul_f16_sdwa v43, v20, v10 dst_sel:DWORD dst_unused:UNUSED_PAD src0_sel:DWORD src1_sel:WORD_1
	;; [unrolled: 1-line block ×4, first 2 shown]
	v_fma_f16 v20, v20, v10, -v40
	v_fma_f16 v38, v38, v10, v43
	v_fma_f16 v21, v21, v11, -v45
	v_fma_f16 v39, v39, v11, v46
	v_add_f16_e32 v40, v14, v20
	v_add_f16_e32 v43, v20, v21
	v_sub_f16_e32 v45, v38, v39
	v_add_f16_e32 v46, v15, v38
	v_add_f16_e32 v38, v38, v39
	v_mul_f16_sdwa v48, v41, v12 dst_sel:DWORD dst_unused:UNUSED_PAD src0_sel:DWORD src1_sel:WORD_1
	v_mul_f16_sdwa v49, v37, v12 dst_sel:DWORD dst_unused:UNUSED_PAD src0_sel:DWORD src1_sel:WORD_1
	;; [unrolled: 1-line block ×4, first 2 shown]
	v_sub_f16_e32 v47, v20, v21
	v_add_f16_e32 v20, v40, v21
	v_fma_f16 v14, v43, -0.5, v14
	v_add_f16_e32 v21, v46, v39
	v_fma_f16 v15, v38, -0.5, v15
	v_fma_f16 v37, v37, v12, -v48
	v_fma_f16 v38, v41, v12, v49
	v_fma_f16 v17, v17, v13, -v50
	v_fma_f16 v39, v42, v13, v51
	v_fma_f16 v40, v45, s4, v14
	;; [unrolled: 1-line block ×5, first 2 shown]
	v_add_f16_e32 v14, v16, v37
	v_add_f16_e32 v15, v37, v17
	v_sub_f16_e32 v45, v38, v39
	v_add_f16_e32 v46, v44, v38
	v_add_f16_e32 v38, v38, v39
	v_sub_f16_e32 v37, v37, v17
	v_add_f16_e32 v14, v14, v17
	v_fma_f16 v15, v15, -0.5, v16
	v_fma_f16 v17, v38, -0.5, v44
	v_add_f16_e32 v16, v46, v39
	v_fma_f16 v38, v45, s4, v15
	v_fma_f16 v39, v37, s5, v17
	v_fma_f16 v15, v45, s5, v15
	v_fma_f16 v17, v37, s4, v17
	v_pack_b32_f16 v14, v14, v16
	v_pack_b32_f16 v16, v38, v39
	;; [unrolled: 1-line block ×3, first 2 shown]
	ds_write2_b32 v36, v14, v16 offset1:45
	ds_write_b32 v36, v15 offset:360
	s_and_saveexec_b64 s[4:5], s[0:1]
	s_cbranch_execz .LBB0_13
; %bb.12:
	v_mad_legacy_u16 v14, v33, s6, v34
	s_mov_b32 s6, 0x5040100
	v_lshlrev_b32_e32 v14, 2, v14
	v_perm_b32 v15, v21, v20, s6
	v_perm_b32 v16, v42, v40, s6
	ds_write2_b32 v14, v15, v16 offset1:45
	v_perm_b32 v15, v43, v41, s6
	ds_write_b32 v14, v15 offset:360
.LBB0_13:
	s_or_b64 exec, exec, s[4:5]
	s_waitcnt lgkmcnt(0)
	s_barrier
	ds_read_b32 v44, v0
	ds_read_b32 v46, v0 offset:1620
	ds_read_b32 v45, v0 offset:3240
	s_and_saveexec_b64 s[4:5], s[0:1]
	s_cbranch_execz .LBB0_15
; %bb.14:
	ds_read_b32 v20, v0 offset:972
	ds_read_b32 v40, v0 offset:2592
	;; [unrolled: 1-line block ×3, first 2 shown]
	s_waitcnt lgkmcnt(2)
	v_lshrrev_b32_e32 v21, 16, v20
	s_waitcnt lgkmcnt(1)
	v_lshrrev_b32_e32 v42, 16, v40
	;; [unrolled: 2-line block ×3, first 2 shown]
.LBB0_15:
	s_or_b64 exec, exec, s[4:5]
	v_add_co_u32_e32 v14, vcc, 0xffffff79, v26
	v_addc_co_u32_e64 v15, s[4:5], 0, -1, vcc
	s_movk_i32 s4, 0x87
	v_cmp_gt_u16_e32 vcc, s4, v26
	s_movk_i32 s4, 0x795d
	v_cndmask_b32_e64 v48, v15, 0, vcc
	v_cndmask_b32_e32 v47, v14, v26, vcc
	v_mul_u32_u24_sdwa v16, v18, s4 dst_sel:DWORD dst_unused:UNUSED_PAD src0_sel:WORD_0 src1_sel:DWORD
	v_lshlrev_b64 v[14:15], 3, v[47:48]
	v_lshrrev_b32_e32 v37, 22, v16
	v_mul_lo_u16_e32 v16, 0x87, v37
	v_mov_b32_e32 v17, s15
	v_add_co_u32_e32 v14, vcc, s14, v14
	v_sub_u16_e32 v38, v18, v16
	v_addc_co_u32_e32 v15, vcc, v17, v15, vcc
	v_lshlrev_b16_e32 v16, 3, v38
	v_add_co_u32_e32 v16, vcc, s14, v16
	global_load_dwordx2 v[14:15], v[14:15], off offset:520
	v_addc_co_u32_e32 v17, vcc, 0, v17, vcc
	global_load_dwordx2 v[16:17], v[16:17], off offset:520
	s_movk_i32 s7, 0x86
	v_mov_b32_e32 v39, 0x195
	v_cmp_lt_u16_e32 vcc, s7, v26
	s_waitcnt lgkmcnt(1)
	v_lshrrev_b32_e32 v49, 16, v46
	s_waitcnt lgkmcnt(0)
	v_lshrrev_b32_e32 v50, 16, v45
	v_cndmask_b32_e32 v39, 0, v39, vcc
	v_add_lshl_u32 v39, v47, v39, 2
	v_lshrrev_b32_e32 v48, 16, v44
	s_movk_i32 s4, 0x3aee
	s_mov_b32 s5, 0xbaee
	s_movk_i32 s6, 0x195
	s_waitcnt vmcnt(0)
	s_barrier
	v_mul_f16_sdwa v47, v49, v14 dst_sel:DWORD dst_unused:UNUSED_PAD src0_sel:DWORD src1_sel:WORD_1
	v_mul_f16_sdwa v51, v46, v14 dst_sel:DWORD dst_unused:UNUSED_PAD src0_sel:DWORD src1_sel:WORD_1
	;; [unrolled: 1-line block ×4, first 2 shown]
	v_fma_f16 v46, v46, v14, -v47
	v_fma_f16 v47, v49, v14, v51
	v_fma_f16 v45, v45, v15, -v52
	v_fma_f16 v49, v50, v15, v53
	v_mul_f16_sdwa v50, v42, v16 dst_sel:DWORD dst_unused:UNUSED_PAD src0_sel:DWORD src1_sel:WORD_1
	v_mul_f16_sdwa v51, v40, v16 dst_sel:DWORD dst_unused:UNUSED_PAD src0_sel:DWORD src1_sel:WORD_1
	;; [unrolled: 1-line block ×4, first 2 shown]
	v_fma_f16 v40, v40, v16, -v50
	v_fma_f16 v42, v42, v16, v51
	v_fma_f16 v41, v41, v17, -v52
	v_fma_f16 v43, v43, v17, v53
	v_add_f16_e32 v50, v44, v46
	v_add_f16_e32 v51, v46, v45
	v_sub_f16_e32 v52, v47, v49
	v_add_f16_e32 v53, v48, v47
	v_add_f16_e32 v47, v47, v49
	v_sub_f16_e32 v46, v46, v45
	v_add_f16_e32 v45, v50, v45
	v_fma_f16 v44, v51, -0.5, v44
	v_fma_f16 v47, v47, -0.5, v48
	v_add_f16_e32 v50, v40, v41
	v_add_f16_e32 v54, v42, v43
	;; [unrolled: 1-line block ×4, first 2 shown]
	v_sub_f16_e32 v51, v42, v43
	v_add_f16_e32 v53, v21, v42
	v_sub_f16_e32 v55, v40, v41
	v_fma_f16 v56, v52, s4, v44
	v_fma_f16 v57, v46, s5, v47
	v_fma_f16 v20, v50, -0.5, v20
	v_fma_f16 v21, v54, -0.5, v21
	v_fma_f16 v52, v52, s5, v44
	v_fma_f16 v46, v46, s4, v47
	v_add_f16_e32 v42, v48, v41
	v_add_f16_e32 v43, v53, v43
	v_pack_b32_f16 v47, v45, v49
	v_fma_f16 v40, v51, s4, v20
	v_fma_f16 v41, v51, s5, v20
	;; [unrolled: 1-line block ×4, first 2 shown]
	v_pack_b32_f16 v20, v56, v57
	v_pack_b32_f16 v21, v52, v46
	ds_write2_b32 v39, v47, v20 offset1:135
	ds_write_b32 v39, v21 offset:1080
	s_and_saveexec_b64 s[4:5], s[0:1]
	s_cbranch_execz .LBB0_17
; %bb.16:
	v_mad_legacy_u16 v20, v37, s6, v38
	s_mov_b32 s6, 0x5040100
	v_lshlrev_b32_e32 v20, 2, v20
	v_perm_b32 v21, v43, v42, s6
	v_perm_b32 v46, v44, v40, s6
	ds_write2_b32 v20, v21, v46 offset1:135
	v_perm_b32 v21, v45, v41, s6
	ds_write_b32 v20, v21 offset:1080
.LBB0_17:
	s_or_b64 exec, exec, s[4:5]
	s_waitcnt lgkmcnt(0)
	s_barrier
	ds_read_b32 v46, v0
	ds_read_b32 v48, v0 offset:1620
	ds_read_b32 v47, v0 offset:3240
	s_and_saveexec_b64 s[4:5], s[0:1]
	s_cbranch_execz .LBB0_19
; %bb.18:
	ds_read_b32 v42, v0 offset:972
	ds_read_b32 v40, v0 offset:2592
	;; [unrolled: 1-line block ×3, first 2 shown]
	s_waitcnt lgkmcnt(2)
	v_lshrrev_b32_e32 v43, 16, v42
	s_waitcnt lgkmcnt(1)
	v_lshrrev_b32_e32 v44, 16, v40
	;; [unrolled: 2-line block ×3, first 2 shown]
.LBB0_19:
	s_or_b64 exec, exec, s[4:5]
	s_movk_i32 s4, 0xff5e
	v_add_co_u32_e32 v50, vcc, s4, v26
	v_addc_co_u32_e64 v51, s[4:5], 0, -1, vcc
	v_lshlrev_b32_e32 v20, 3, v26
	v_cndmask_b32_e64 v19, v51, v19, s[0:1]
	v_cndmask_b32_e64 v18, v50, v18, s[0:1]
	global_load_dwordx2 v[20:21], v20, s[14:15] offset:1600
	v_lshlrev_b64 v[18:19], 3, v[18:19]
	v_mov_b32_e32 v49, s15
	v_add_co_u32_e32 v18, vcc, s14, v18
	v_addc_co_u32_e32 v19, vcc, v49, v19, vcc
	global_load_dwordx2 v[18:19], v[18:19], off offset:1600
	s_waitcnt lgkmcnt(1)
	v_lshrrev_b32_e32 v50, 16, v48
	s_waitcnt lgkmcnt(0)
	v_lshrrev_b32_e32 v51, 16, v47
	v_lshrrev_b32_e32 v49, 16, v46
	s_movk_i32 s4, 0x3aee
	s_mov_b32 s5, 0xbaee
	s_waitcnt vmcnt(1)
	v_mul_f16_sdwa v52, v50, v20 dst_sel:DWORD dst_unused:UNUSED_PAD src0_sel:DWORD src1_sel:WORD_1
	v_mul_f16_sdwa v53, v48, v20 dst_sel:DWORD dst_unused:UNUSED_PAD src0_sel:DWORD src1_sel:WORD_1
	;; [unrolled: 1-line block ×4, first 2 shown]
	v_fma_f16 v48, v48, v20, -v52
	v_fma_f16 v50, v50, v20, v53
	v_fma_f16 v47, v47, v21, -v54
	v_fma_f16 v51, v51, v21, v55
	v_add_f16_e32 v52, v46, v48
	v_add_f16_e32 v53, v48, v47
	v_sub_f16_e32 v54, v50, v51
	v_add_f16_e32 v55, v49, v50
	v_add_f16_e32 v50, v50, v51
	v_sub_f16_e32 v48, v48, v47
	v_add_f16_e32 v47, v52, v47
	v_fma_f16 v46, v53, -0.5, v46
	v_add_f16_e32 v51, v55, v51
	v_fma_f16 v49, v50, -0.5, v49
	v_fma_f16 v50, v54, s4, v46
	v_fma_f16 v46, v54, s5, v46
	;; [unrolled: 1-line block ×4, first 2 shown]
	v_pack_b32_f16 v47, v47, v51
	s_waitcnt vmcnt(0)
	v_mul_f16_sdwa v49, v44, v18 dst_sel:DWORD dst_unused:UNUSED_PAD src0_sel:DWORD src1_sel:WORD_1
	v_mul_f16_sdwa v51, v40, v18 dst_sel:DWORD dst_unused:UNUSED_PAD src0_sel:DWORD src1_sel:WORD_1
	;; [unrolled: 1-line block ×4, first 2 shown]
	ds_write_b32 v0, v47
	v_pack_b32_f16 v50, v50, v52
	v_pack_b32_f16 v52, v46, v48
	v_fma_f16 v46, v40, v18, -v49
	v_fma_f16 v47, v44, v18, v51
	v_fma_f16 v44, v41, v19, -v53
	v_fma_f16 v45, v45, v19, v54
	v_add_f16_e32 v40, v46, v44
	v_add_f16_e32 v41, v47, v45
	ds_write_b32 v0, v50 offset:1620
	v_sub_f16_e32 v49, v47, v45
	v_sub_f16_e32 v50, v46, v44
	v_fma_f16 v48, v40, -0.5, v42
	v_fma_f16 v51, v41, -0.5, v43
	v_fma_f16 v40, v49, s5, v48
	v_fma_f16 v41, v50, s4, v51
	ds_write_b32 v0, v52 offset:3240
	s_and_saveexec_b64 s[4:5], s[0:1]
	s_cbranch_execz .LBB0_21
; %bb.20:
	v_add_f16_e32 v43, v43, v47
	v_add_f16_e32 v42, v42, v46
	v_mul_f16_e32 v49, 0x3aee, v49
	v_mul_f16_e32 v50, 0x3aee, v50
	v_add_f16_e32 v43, v43, v45
	v_add_f16_e32 v42, v42, v44
	v_sub_f16_e32 v50, v51, v50
	v_add_f16_e32 v45, v49, v48
	v_pack_b32_f16 v42, v42, v43
	ds_write_b32 v0, v42 offset:972
	v_pack_b32_f16 v42, v45, v50
	s_mov_b32 s6, 0x5040100
	ds_write_b32 v0, v42 offset:2592
	v_perm_b32 v42, v41, v40, s6
	ds_write_b32 v0, v42 offset:4212
.LBB0_21:
	s_or_b64 exec, exec, s[4:5]
	v_mov_b32_e32 v42, s13
	v_add_co_u32_e32 v44, vcc, s12, v0
	v_addc_co_u32_e32 v45, vcc, 0, v42, vcc
	v_add_co_u32_e32 v42, vcc, 0x12fc, v44
	v_addc_co_u32_e32 v43, vcc, 0, v45, vcc
	s_waitcnt lgkmcnt(0)
	s_barrier
	global_load_dword v46, v[42:43], off offset:972
	v_add_co_u32_e32 v44, vcc, 0x1000, v44
	v_addc_co_u32_e32 v45, vcc, 0, v45, vcc
	global_load_dword v47, v[44:45], off offset:764
	global_load_dword v48, v[42:43], off offset:1944
	;; [unrolled: 1-line block ×4, first 2 shown]
	ds_read2_b32 v[42:43], v0 offset1:243
	v_add_u32_e32 v44, 0x780, v0
	s_movk_i32 s4, 0x3b9c
	s_movk_i32 s5, 0x38b4
	s_mov_b32 s6, 0xffff
	s_waitcnt lgkmcnt(0)
	v_lshrrev_b32_e32 v45, 16, v42
	v_lshrrev_b32_e32 v51, 16, v43
	s_movk_i32 s7, 0x34f2
	s_waitcnt vmcnt(4)
	v_mul_f16_sdwa v52, v51, v46 dst_sel:DWORD dst_unused:UNUSED_PAD src0_sel:DWORD src1_sel:WORD_1
	v_mul_f16_sdwa v53, v43, v46 dst_sel:DWORD dst_unused:UNUSED_PAD src0_sel:DWORD src1_sel:WORD_1
	s_waitcnt vmcnt(3)
	v_mul_f16_sdwa v54, v45, v47 dst_sel:DWORD dst_unused:UNUSED_PAD src0_sel:DWORD src1_sel:WORD_1
	v_mul_f16_sdwa v55, v42, v47 dst_sel:DWORD dst_unused:UNUSED_PAD src0_sel:DWORD src1_sel:WORD_1
	v_fma_f16 v43, v43, v46, -v52
	v_fma_f16 v46, v51, v46, v53
	v_fma_f16 v42, v42, v47, -v54
	v_fma_f16 v45, v45, v47, v55
	v_pack_b32_f16 v43, v43, v46
	v_pack_b32_f16 v42, v42, v45
	ds_write2_b32 v0, v42, v43 offset1:243
	ds_read2_b32 v[42:43], v44 offset0:6 offset1:249
	ds_read_b32 v45, v0 offset:3888
	s_waitcnt lgkmcnt(1)
	v_lshrrev_b32_e32 v46, 16, v42
	s_waitcnt vmcnt(2)
	v_mul_f16_sdwa v47, v42, v48 dst_sel:DWORD dst_unused:UNUSED_PAD src0_sel:DWORD src1_sel:WORD_1
	v_lshrrev_b32_e32 v51, 16, v43
	s_waitcnt vmcnt(1)
	v_mul_f16_sdwa v52, v43, v49 dst_sel:DWORD dst_unused:UNUSED_PAD src0_sel:DWORD src1_sel:WORD_1
	s_waitcnt lgkmcnt(0)
	v_lshrrev_b32_e32 v53, 16, v45
	s_waitcnt vmcnt(0)
	v_mul_f16_sdwa v54, v45, v50 dst_sel:DWORD dst_unused:UNUSED_PAD src0_sel:DWORD src1_sel:WORD_1
	v_mul_f16_sdwa v55, v46, v48 dst_sel:DWORD dst_unused:UNUSED_PAD src0_sel:DWORD src1_sel:WORD_1
	v_fma_f16 v46, v46, v48, v47
	v_mul_f16_sdwa v47, v51, v49 dst_sel:DWORD dst_unused:UNUSED_PAD src0_sel:DWORD src1_sel:WORD_1
	v_fma_f16 v51, v51, v49, v52
	v_mul_f16_sdwa v52, v53, v50 dst_sel:DWORD dst_unused:UNUSED_PAD src0_sel:DWORD src1_sel:WORD_1
	v_fma_f16 v53, v53, v50, v54
	v_fma_f16 v42, v42, v48, -v55
	v_fma_f16 v43, v43, v49, -v47
	;; [unrolled: 1-line block ×3, first 2 shown]
	v_pack_b32_f16 v42, v42, v46
	v_pack_b32_f16 v43, v43, v51
	;; [unrolled: 1-line block ×3, first 2 shown]
	ds_write2_b32 v44, v42, v43 offset0:6 offset1:249
	ds_write_b32 v0, v45 offset:3888
	s_waitcnt lgkmcnt(0)
	s_barrier
	ds_read2_b32 v[42:43], v0 offset1:243
	ds_read2_b32 v[44:45], v44 offset0:6 offset1:249
	ds_read_b32 v46, v0 offset:3888
	s_waitcnt lgkmcnt(0)
	s_barrier
	v_pk_add_f16 v47, v42, v43
	v_pk_add_f16 v48, v44, v45
	v_pk_add_f16 v49, v43, v46 neg_lo:[0,1] neg_hi:[0,1]
	v_pk_add_f16 v50, v44, v45 neg_lo:[0,1] neg_hi:[0,1]
	v_pk_add_f16 v53, v43, v46
	v_pk_add_f16 v51, v43, v44 neg_lo:[0,1] neg_hi:[0,1]
	v_pk_add_f16 v43, v44, v43 neg_lo:[0,1] neg_hi:[0,1]
	v_pk_add_f16 v44, v47, v44
	v_pk_fma_f16 v47, v48, 0.5, v42 op_sel_hi:[1,0,1] neg_lo:[1,0,0] neg_hi:[1,0,0]
	v_pk_mul_f16 v48, v49, s4 op_sel_hi:[1,0]
	v_pk_mul_f16 v55, v50, s5 op_sel_hi:[1,0]
	v_pk_fma_f16 v42, v53, 0.5, v42 op_sel_hi:[1,0,1] neg_lo:[1,0,0] neg_hi:[1,0,0]
	v_pk_mul_f16 v50, v50, s4 op_sel_hi:[1,0]
	v_pk_add_f16 v52, v46, v45 neg_lo:[0,1] neg_hi:[0,1]
	v_pk_add_f16 v54, v45, v46 neg_lo:[0,1] neg_hi:[0,1]
	v_pk_mul_f16 v49, v49, s5 op_sel_hi:[1,0]
	v_pk_add_f16 v44, v44, v45
	v_pk_add_f16 v45, v47, v48 op_sel:[0,1] op_sel_hi:[1,0] neg_lo:[0,1] neg_hi:[0,1]
	v_pk_add_f16 v47, v47, v48 op_sel:[0,1] op_sel_hi:[1,0]
	v_pk_add_f16 v48, v42, v50 op_sel:[0,1] op_sel_hi:[1,0]
	v_pk_add_f16 v42, v42, v50 op_sel:[0,1] op_sel_hi:[1,0] neg_lo:[0,1] neg_hi:[0,1]
	v_pk_add_f16 v44, v44, v46
	v_pk_add_f16 v45, v45, v55 op_sel:[0,1] op_sel_hi:[1,0] neg_lo:[0,1] neg_hi:[0,1]
	v_pk_add_f16 v46, v47, v55 op_sel:[0,1] op_sel_hi:[1,0]
	v_pk_add_f16 v47, v48, v49 op_sel:[0,1] op_sel_hi:[1,0] neg_lo:[0,1] neg_hi:[0,1]
	v_pk_add_f16 v42, v42, v49 op_sel:[0,1] op_sel_hi:[1,0]
	v_pk_add_f16 v51, v51, v52
	v_pk_add_f16 v43, v43, v54
	v_bfi_b32 v48, s6, v45, v46
	v_bfi_b32 v49, s6, v47, v42
	;; [unrolled: 1-line block ×3, first 2 shown]
	v_pk_fma_f16 v47, v51, s7, v48 op_sel_hi:[1,0,1]
	v_pk_fma_f16 v48, v43, s7, v49 op_sel_hi:[1,0,1]
	;; [unrolled: 1-line block ×3, first 2 shown]
	v_bfi_b32 v43, s6, v46, v45
	ds_write2_b32 v28, v44, v47 offset1:1
	ds_write2_b32 v28, v48, v42 offset0:2 offset1:3
	v_pk_fma_f16 v44, v51, s7, v43 op_sel_hi:[1,0,1]
	ds_write_b32 v28, v44 offset:16
	s_waitcnt lgkmcnt(0)
	s_barrier
	ds_read_b32 v43, v0
	ds_read_b32 v46, v0 offset:1620
	ds_read_b32 v45, v0 offset:3240
	v_lshrrev_b32_e32 v28, 16, v42
	v_lshrrev_b32_e32 v47, 16, v44
	s_and_saveexec_b64 s[4:5], s[0:1]
	s_cbranch_execz .LBB0_23
; %bb.22:
	ds_read_b32 v42, v0 offset:972
	ds_read_b32 v44, v0 offset:2592
	;; [unrolled: 1-line block ×3, first 2 shown]
	s_waitcnt lgkmcnt(2)
	v_lshrrev_b32_e32 v28, 16, v42
	s_waitcnt lgkmcnt(1)
	v_lshrrev_b32_e32 v47, 16, v44
	;; [unrolled: 2-line block ×3, first 2 shown]
.LBB0_23:
	s_or_b64 exec, exec, s[4:5]
	s_waitcnt lgkmcnt(1)
	v_lshrrev_b32_e32 v49, 16, v46
	v_mul_f16_sdwa v51, v4, v49 dst_sel:DWORD dst_unused:UNUSED_PAD src0_sel:WORD_1 src1_sel:DWORD
	s_waitcnt lgkmcnt(0)
	v_lshrrev_b32_e32 v50, 16, v45
	v_fma_f16 v51, v4, v46, v51
	v_mul_f16_sdwa v46, v4, v46 dst_sel:DWORD dst_unused:UNUSED_PAD src0_sel:WORD_1 src1_sel:DWORD
	v_fma_f16 v4, v4, v49, -v46
	v_mul_f16_sdwa v46, v5, v50 dst_sel:DWORD dst_unused:UNUSED_PAD src0_sel:WORD_1 src1_sel:DWORD
	v_fma_f16 v46, v5, v45, v46
	v_mul_f16_sdwa v45, v5, v45 dst_sel:DWORD dst_unused:UNUSED_PAD src0_sel:WORD_1 src1_sel:DWORD
	v_fma_f16 v5, v5, v50, -v45
	v_mul_f16_sdwa v45, v2, v47 dst_sel:DWORD dst_unused:UNUSED_PAD src0_sel:WORD_1 src1_sel:DWORD
	v_fma_f16 v45, v2, v44, v45
	v_mul_f16_sdwa v44, v2, v44 dst_sel:DWORD dst_unused:UNUSED_PAD src0_sel:WORD_1 src1_sel:DWORD
	v_fma_f16 v44, v2, v47, -v44
	v_mul_f16_sdwa v2, v3, v41 dst_sel:DWORD dst_unused:UNUSED_PAD src0_sel:WORD_1 src1_sel:DWORD
	v_fma_f16 v47, v3, v40, v2
	v_mul_f16_sdwa v2, v3, v40 dst_sel:DWORD dst_unused:UNUSED_PAD src0_sel:WORD_1 src1_sel:DWORD
	v_fma_f16 v40, v3, v41, -v2
	v_add_f16_e32 v2, v43, v51
	v_add_f16_e32 v41, v2, v46
	;; [unrolled: 1-line block ×3, first 2 shown]
	v_lshrrev_b32_e32 v48, 16, v43
	v_fma_f16 v2, v2, -0.5, v43
	v_sub_f16_e32 v3, v4, v5
	s_mov_b32 s4, 0xbaee
	s_movk_i32 s5, 0x3aee
	v_fma_f16 v43, v3, s4, v2
	v_fma_f16 v49, v3, s5, v2
	v_add_f16_e32 v2, v48, v4
	v_add_f16_e32 v50, v2, v5
	;; [unrolled: 1-line block ×3, first 2 shown]
	v_fma_f16 v2, v2, -0.5, v48
	v_sub_f16_e32 v3, v51, v46
	v_fma_f16 v46, v3, s5, v2
	v_fma_f16 v48, v3, s4, v2
	v_add_f16_e32 v3, v45, v47
	v_fma_f16 v3, v3, -0.5, v42
	v_sub_f16_e32 v5, v44, v40
	v_fma_f16 v4, v5, s4, v3
	v_fma_f16 v5, v5, s5, v3
	v_add_f16_e32 v3, v28, v44
	v_add_f16_e32 v3, v3, v40
	;; [unrolled: 1-line block ×4, first 2 shown]
	v_fma_f16 v28, v40, -0.5, v28
	v_sub_f16_e32 v42, v45, v47
	v_fma_f16 v40, v42, s5, v28
	v_fma_f16 v28, v42, s4, v28
	v_pack_b32_f16 v41, v41, v50
	v_pack_b32_f16 v42, v43, v46
	v_add_f16_e32 v2, v2, v47
	s_barrier
	ds_write2_b32 v31, v41, v42 offset1:5
	v_pack_b32_f16 v41, v49, v48
	ds_write_b32 v31, v41 offset:40
	s_and_saveexec_b64 s[4:5], s[0:1]
	s_cbranch_execz .LBB0_25
; %bb.24:
	v_mad_legacy_u16 v29, v29, 15, v30
	s_mov_b32 s6, 0x5040100
	v_lshlrev_b32_e32 v29, 2, v29
	v_perm_b32 v30, v3, v2, s6
	v_perm_b32 v31, v40, v4, s6
	ds_write2_b32 v29, v30, v31 offset1:5
	v_perm_b32 v30, v28, v5, s6
	ds_write_b32 v29, v30 offset:40
.LBB0_25:
	s_or_b64 exec, exec, s[4:5]
	s_waitcnt lgkmcnt(0)
	s_barrier
	ds_read_b32 v29, v0
	ds_read_b32 v31, v0 offset:1620
	ds_read_b32 v30, v0 offset:3240
	s_and_saveexec_b64 s[4:5], s[0:1]
	s_cbranch_execz .LBB0_27
; %bb.26:
	ds_read_b32 v2, v0 offset:972
	ds_read_b32 v4, v0 offset:2592
	;; [unrolled: 1-line block ×3, first 2 shown]
	s_waitcnt lgkmcnt(2)
	v_lshrrev_b32_e32 v3, 16, v2
	s_waitcnt lgkmcnt(1)
	v_lshrrev_b32_e32 v40, 16, v4
	;; [unrolled: 2-line block ×3, first 2 shown]
.LBB0_27:
	s_or_b64 exec, exec, s[4:5]
	s_waitcnt lgkmcnt(1)
	v_lshrrev_b32_e32 v42, 16, v31
	v_mul_f16_sdwa v44, v6, v42 dst_sel:DWORD dst_unused:UNUSED_PAD src0_sel:WORD_1 src1_sel:DWORD
	s_waitcnt lgkmcnt(0)
	v_lshrrev_b32_e32 v43, 16, v30
	v_fma_f16 v44, v6, v31, v44
	v_mul_f16_sdwa v31, v6, v31 dst_sel:DWORD dst_unused:UNUSED_PAD src0_sel:WORD_1 src1_sel:DWORD
	v_fma_f16 v6, v6, v42, -v31
	v_mul_f16_sdwa v31, v7, v43 dst_sel:DWORD dst_unused:UNUSED_PAD src0_sel:WORD_1 src1_sel:DWORD
	v_fma_f16 v31, v7, v30, v31
	v_mul_f16_sdwa v30, v7, v30 dst_sel:DWORD dst_unused:UNUSED_PAD src0_sel:WORD_1 src1_sel:DWORD
	v_fma_f16 v7, v7, v43, -v30
	v_mul_f16_sdwa v30, v8, v40 dst_sel:DWORD dst_unused:UNUSED_PAD src0_sel:WORD_1 src1_sel:DWORD
	;; [unrolled: 4-line block ×3, first 2 shown]
	v_fma_f16 v40, v9, v5, v4
	v_mul_f16_sdwa v4, v9, v5 dst_sel:DWORD dst_unused:UNUSED_PAD src0_sel:WORD_1 src1_sel:DWORD
	v_fma_f16 v9, v9, v28, -v4
	v_add_f16_e32 v4, v29, v44
	v_add_f16_e32 v28, v4, v31
	v_add_f16_e32 v4, v44, v31
	v_lshrrev_b32_e32 v41, 16, v29
	v_fma_f16 v4, v4, -0.5, v29
	v_sub_f16_e32 v5, v6, v7
	s_mov_b32 s4, 0xbaee
	s_movk_i32 s5, 0x3aee
	v_fma_f16 v29, v5, s4, v4
	v_fma_f16 v42, v5, s5, v4
	v_add_f16_e32 v4, v41, v6
	v_add_f16_e32 v43, v4, v7
	;; [unrolled: 1-line block ×3, first 2 shown]
	v_fma_f16 v4, v4, -0.5, v41
	v_sub_f16_e32 v5, v44, v31
	v_fma_f16 v31, v5, s5, v4
	v_fma_f16 v41, v5, s4, v4
	v_add_f16_e32 v5, v30, v40
	v_add_f16_e32 v4, v2, v30
	v_fma_f16 v2, v5, -0.5, v2
	v_sub_f16_e32 v6, v8, v9
	v_add_f16_e32 v7, v8, v9
	v_fma_f16 v5, v6, s4, v2
	v_fma_f16 v6, v6, s5, v2
	v_add_f16_e32 v2, v3, v8
	v_fma_f16 v3, v7, -0.5, v3
	v_sub_f16_e32 v8, v30, v40
	v_add_f16_e32 v2, v2, v9
	v_fma_f16 v7, v8, s5, v3
	v_fma_f16 v3, v8, s4, v3
	v_pack_b32_f16 v8, v28, v43
	v_pack_b32_f16 v9, v29, v31
	v_add_f16_e32 v4, v4, v40
	s_barrier
	ds_write2_b32 v32, v8, v9 offset1:15
	v_pack_b32_f16 v8, v42, v41
	ds_write_b32 v32, v8 offset:120
	s_and_saveexec_b64 s[4:5], s[0:1]
	s_cbranch_execz .LBB0_29
; %bb.28:
	s_mov_b32 s6, 0x5040100
	v_lshlrev_b32_e32 v8, 2, v35
	v_perm_b32 v9, v2, v4, s6
	v_perm_b32 v28, v7, v5, s6
	ds_write2_b32 v8, v9, v28 offset1:15
	v_perm_b32 v9, v3, v6, s6
	ds_write_b32 v8, v9 offset:120
.LBB0_29:
	s_or_b64 exec, exec, s[4:5]
	s_waitcnt lgkmcnt(0)
	s_barrier
	ds_read_b32 v8, v0
	ds_read_b32 v28, v0 offset:1620
	ds_read_b32 v9, v0 offset:3240
	s_and_saveexec_b64 s[4:5], s[0:1]
	s_cbranch_execz .LBB0_31
; %bb.30:
	ds_read_b32 v4, v0 offset:972
	ds_read_b32 v5, v0 offset:2592
	;; [unrolled: 1-line block ×3, first 2 shown]
	s_waitcnt lgkmcnt(2)
	v_lshrrev_b32_e32 v2, 16, v4
	s_waitcnt lgkmcnt(1)
	v_lshrrev_b32_e32 v7, 16, v5
	;; [unrolled: 2-line block ×3, first 2 shown]
.LBB0_31:
	s_or_b64 exec, exec, s[4:5]
	s_waitcnt lgkmcnt(1)
	v_lshrrev_b32_e32 v30, 16, v28
	v_mul_f16_sdwa v32, v12, v30 dst_sel:DWORD dst_unused:UNUSED_PAD src0_sel:WORD_1 src1_sel:DWORD
	s_waitcnt lgkmcnt(0)
	v_lshrrev_b32_e32 v31, 16, v9
	v_fma_f16 v32, v12, v28, v32
	v_mul_f16_sdwa v28, v12, v28 dst_sel:DWORD dst_unused:UNUSED_PAD src0_sel:WORD_1 src1_sel:DWORD
	v_fma_f16 v12, v12, v30, -v28
	v_mul_f16_sdwa v28, v13, v31 dst_sel:DWORD dst_unused:UNUSED_PAD src0_sel:WORD_1 src1_sel:DWORD
	v_fma_f16 v28, v13, v9, v28
	v_mul_f16_sdwa v9, v13, v9 dst_sel:DWORD dst_unused:UNUSED_PAD src0_sel:WORD_1 src1_sel:DWORD
	v_fma_f16 v9, v13, v31, -v9
	v_mul_f16_sdwa v13, v10, v7 dst_sel:DWORD dst_unused:UNUSED_PAD src0_sel:WORD_1 src1_sel:DWORD
	;; [unrolled: 4-line block ×3, first 2 shown]
	v_fma_f16 v10, v11, v6, v5
	v_mul_f16_sdwa v5, v11, v6 dst_sel:DWORD dst_unused:UNUSED_PAD src0_sel:WORD_1 src1_sel:DWORD
	v_fma_f16 v11, v11, v3, -v5
	v_add_f16_e32 v3, v8, v32
	v_add_f16_e32 v30, v3, v28
	;; [unrolled: 1-line block ×3, first 2 shown]
	v_lshrrev_b32_e32 v29, 16, v8
	v_fma_f16 v3, v3, -0.5, v8
	v_sub_f16_e32 v5, v12, v9
	s_mov_b32 s4, 0xbaee
	s_movk_i32 s5, 0x3aee
	v_fma_f16 v8, v5, s4, v3
	v_fma_f16 v31, v5, s5, v3
	v_add_f16_e32 v3, v29, v12
	v_add_f16_e32 v35, v3, v9
	;; [unrolled: 1-line block ×3, first 2 shown]
	v_fma_f16 v3, v3, -0.5, v29
	v_sub_f16_e32 v5, v32, v28
	v_fma_f16 v9, v5, s5, v3
	v_fma_f16 v12, v5, s4, v3
	v_add_f16_e32 v5, v13, v10
	v_fma_f16 v5, v5, -0.5, v4
	v_sub_f16_e32 v6, v7, v11
	v_add_f16_e32 v3, v4, v13
	v_fma_f16 v4, v6, s4, v5
	v_fma_f16 v5, v6, s5, v5
	v_add_f16_e32 v6, v2, v7
	v_add_f16_e32 v7, v7, v11
	;; [unrolled: 1-line block ×3, first 2 shown]
	v_fma_f16 v2, v7, -0.5, v2
	v_sub_f16_e32 v10, v13, v10
	v_fma_f16 v7, v10, s5, v2
	v_fma_f16 v2, v10, s4, v2
	v_pack_b32_f16 v10, v30, v35
	v_pack_b32_f16 v8, v8, v9
	v_add_f16_e32 v6, v6, v11
	s_barrier
	ds_write2_b32 v36, v10, v8 offset1:45
	v_pack_b32_f16 v8, v31, v12
	ds_write_b32 v36, v8 offset:360
	s_and_saveexec_b64 s[4:5], s[0:1]
	s_cbranch_execz .LBB0_33
; %bb.32:
	s_movk_i32 s6, 0x87
	v_mad_legacy_u16 v8, v33, s6, v34
	s_mov_b32 s6, 0x5040100
	v_lshlrev_b32_e32 v8, 2, v8
	v_perm_b32 v9, v6, v3, s6
	v_perm_b32 v10, v7, v4, s6
	ds_write2_b32 v8, v9, v10 offset1:45
	v_perm_b32 v9, v2, v5, s6
	ds_write_b32 v8, v9 offset:360
.LBB0_33:
	s_or_b64 exec, exec, s[4:5]
	s_waitcnt lgkmcnt(0)
	s_barrier
	ds_read_b32 v8, v0
	ds_read_b32 v10, v0 offset:1620
	ds_read_b32 v9, v0 offset:3240
	s_and_saveexec_b64 s[4:5], s[0:1]
	s_cbranch_execz .LBB0_35
; %bb.34:
	ds_read_b32 v3, v0 offset:972
	ds_read_b32 v4, v0 offset:2592
	ds_read_b32 v5, v0 offset:4212
	s_waitcnt lgkmcnt(2)
	v_lshrrev_b32_e32 v6, 16, v3
	s_waitcnt lgkmcnt(1)
	v_lshrrev_b32_e32 v7, 16, v4
	;; [unrolled: 2-line block ×3, first 2 shown]
.LBB0_35:
	s_or_b64 exec, exec, s[4:5]
	s_waitcnt lgkmcnt(1)
	v_lshrrev_b32_e32 v12, 16, v10
	v_mul_f16_sdwa v28, v14, v12 dst_sel:DWORD dst_unused:UNUSED_PAD src0_sel:WORD_1 src1_sel:DWORD
	s_waitcnt lgkmcnt(0)
	v_lshrrev_b32_e32 v13, 16, v9
	v_fma_f16 v28, v14, v10, v28
	v_mul_f16_sdwa v10, v14, v10 dst_sel:DWORD dst_unused:UNUSED_PAD src0_sel:WORD_1 src1_sel:DWORD
	v_fma_f16 v10, v14, v12, -v10
	v_mul_f16_sdwa v12, v15, v13 dst_sel:DWORD dst_unused:UNUSED_PAD src0_sel:WORD_1 src1_sel:DWORD
	v_fma_f16 v12, v15, v9, v12
	v_mul_f16_sdwa v9, v15, v9 dst_sel:DWORD dst_unused:UNUSED_PAD src0_sel:WORD_1 src1_sel:DWORD
	v_fma_f16 v9, v15, v13, -v9
	v_mul_f16_sdwa v13, v16, v7 dst_sel:DWORD dst_unused:UNUSED_PAD src0_sel:WORD_1 src1_sel:DWORD
	;; [unrolled: 4-line block ×3, first 2 shown]
	v_fma_f16 v14, v17, v5, v4
	v_mul_f16_sdwa v4, v17, v5 dst_sel:DWORD dst_unused:UNUSED_PAD src0_sel:WORD_1 src1_sel:DWORD
	v_fma_f16 v15, v17, v2, -v4
	v_add_f16_e32 v2, v8, v28
	v_add_f16_e32 v16, v2, v12
	;; [unrolled: 1-line block ×3, first 2 shown]
	v_lshrrev_b32_e32 v11, 16, v8
	v_fma_f16 v2, v2, -0.5, v8
	v_sub_f16_e32 v4, v10, v9
	s_mov_b32 s4, 0xbaee
	s_movk_i32 s5, 0x3aee
	v_fma_f16 v8, v4, s4, v2
	v_fma_f16 v17, v4, s5, v2
	v_add_f16_e32 v2, v11, v10
	v_add_f16_e32 v29, v2, v9
	;; [unrolled: 1-line block ×3, first 2 shown]
	v_fma_f16 v2, v2, -0.5, v11
	v_sub_f16_e32 v4, v28, v12
	v_fma_f16 v9, v4, s5, v2
	v_fma_f16 v10, v4, s4, v2
	v_add_f16_e32 v4, v13, v14
	v_fma_f16 v4, v4, -0.5, v3
	v_sub_f16_e32 v5, v7, v15
	v_add_f16_e32 v2, v3, v13
	v_fma_f16 v3, v5, s4, v4
	v_fma_f16 v5, v5, s5, v4
	v_add_f16_e32 v4, v6, v7
	v_add_f16_e32 v7, v7, v15
	v_fma_f16 v7, v7, -0.5, v6
	v_sub_f16_e32 v11, v13, v14
	v_fma_f16 v6, v11, s5, v7
	v_fma_f16 v7, v11, s4, v7
	v_pack_b32_f16 v11, v16, v29
	v_pack_b32_f16 v8, v8, v9
	v_add_f16_e32 v2, v2, v14
	v_add_f16_e32 v4, v4, v15
	s_barrier
	ds_write2_b32 v39, v11, v8 offset1:135
	v_pack_b32_f16 v8, v17, v10
	ds_write_b32 v39, v8 offset:1080
	s_and_saveexec_b64 s[4:5], s[0:1]
	s_cbranch_execz .LBB0_37
; %bb.36:
	s_movk_i32 s6, 0x195
	v_mad_legacy_u16 v8, v37, s6, v38
	s_mov_b32 s6, 0x5040100
	v_lshlrev_b32_e32 v8, 2, v8
	v_perm_b32 v9, v4, v2, s6
	v_perm_b32 v10, v6, v3, s6
	ds_write2_b32 v8, v9, v10 offset1:135
	v_perm_b32 v9, v7, v5, s6
	ds_write_b32 v8, v9 offset:1080
.LBB0_37:
	s_or_b64 exec, exec, s[4:5]
	s_waitcnt lgkmcnt(0)
	s_barrier
	ds_read_b32 v8, v0
	ds_read_b32 v10, v0 offset:1620
	ds_read_b32 v9, v0 offset:3240
	s_and_saveexec_b64 s[4:5], s[0:1]
	s_cbranch_execz .LBB0_39
; %bb.38:
	ds_read_b32 v2, v0 offset:972
	ds_read_b32 v3, v0 offset:2592
	;; [unrolled: 1-line block ×3, first 2 shown]
	s_waitcnt lgkmcnt(2)
	v_lshrrev_b32_e32 v4, 16, v2
	s_waitcnt lgkmcnt(1)
	v_lshrrev_b32_e32 v6, 16, v3
	;; [unrolled: 2-line block ×3, first 2 shown]
.LBB0_39:
	s_or_b64 exec, exec, s[4:5]
	s_waitcnt lgkmcnt(1)
	v_lshrrev_b32_e32 v12, 16, v10
	v_mul_f16_sdwa v14, v20, v12 dst_sel:DWORD dst_unused:UNUSED_PAD src0_sel:WORD_1 src1_sel:DWORD
	s_waitcnt lgkmcnt(0)
	v_lshrrev_b32_e32 v13, 16, v9
	v_fma_f16 v14, v20, v10, v14
	v_mul_f16_sdwa v10, v20, v10 dst_sel:DWORD dst_unused:UNUSED_PAD src0_sel:WORD_1 src1_sel:DWORD
	v_fma_f16 v10, v20, v12, -v10
	v_mul_f16_sdwa v12, v21, v13 dst_sel:DWORD dst_unused:UNUSED_PAD src0_sel:WORD_1 src1_sel:DWORD
	v_fma_f16 v12, v21, v9, v12
	v_mul_f16_sdwa v9, v21, v9 dst_sel:DWORD dst_unused:UNUSED_PAD src0_sel:WORD_1 src1_sel:DWORD
	v_fma_f16 v9, v21, v13, -v9
	v_add_f16_e32 v15, v14, v12
	v_lshrrev_b32_e32 v11, 16, v8
	v_add_f16_e32 v13, v8, v14
	v_fma_f16 v8, v15, -0.5, v8
	v_sub_f16_e32 v15, v10, v9
	s_mov_b32 s6, 0xbaee
	s_movk_i32 s7, 0x3aee
	v_fma_f16 v16, v15, s6, v8
	v_fma_f16 v8, v15, s7, v8
	v_add_f16_e32 v15, v11, v10
	v_add_f16_e32 v15, v15, v9
	;; [unrolled: 1-line block ×4, first 2 shown]
	v_fma_f16 v9, v9, -0.5, v11
	v_sub_f16_e32 v10, v14, v12
	v_fma_f16 v11, v10, s7, v9
	v_fma_f16 v9, v10, s6, v9
	v_pack_b32_f16 v10, v13, v15
	ds_write_b32 v0, v10
	v_pack_b32_f16 v10, v16, v11
	v_pack_b32_f16 v8, v8, v9
	ds_write_b32 v0, v10 offset:1620
	ds_write_b32 v0, v8 offset:3240
	s_and_saveexec_b64 s[4:5], s[0:1]
	s_cbranch_execz .LBB0_41
; %bb.40:
	v_mul_f16_sdwa v8, v18, v3 dst_sel:DWORD dst_unused:UNUSED_PAD src0_sel:WORD_1 src1_sel:DWORD
	v_fma_f16 v8, v18, v6, -v8
	v_mul_f16_sdwa v9, v19, v5 dst_sel:DWORD dst_unused:UNUSED_PAD src0_sel:WORD_1 src1_sel:DWORD
	v_mul_f16_sdwa v6, v18, v6 dst_sel:DWORD dst_unused:UNUSED_PAD src0_sel:WORD_1 src1_sel:DWORD
	v_fma_f16 v9, v19, v7, -v9
	v_fma_f16 v3, v18, v3, v6
	v_mul_f16_sdwa v6, v19, v7 dst_sel:DWORD dst_unused:UNUSED_PAD src0_sel:WORD_1 src1_sel:DWORD
	v_add_f16_e32 v10, v8, v9
	v_fma_f16 v5, v19, v5, v6
	v_fma_f16 v10, v10, -0.5, v4
	v_sub_f16_e32 v6, v3, v5
	v_fma_f16 v7, v6, s6, v10
	v_fma_f16 v6, v6, s7, v10
	v_add_f16_e32 v10, v3, v5
	v_add_f16_e32 v4, v4, v8
	v_fma_f16 v10, v10, -0.5, v2
	v_add_f16_e32 v2, v2, v3
	v_add_f16_e32 v4, v4, v9
	v_sub_f16_e32 v8, v8, v9
	v_add_f16_e32 v2, v2, v5
	v_fma_f16 v9, v8, s7, v10
	v_fma_f16 v8, v8, s6, v10
	v_pack_b32_f16 v2, v2, v4
	ds_write_b32 v0, v2 offset:972
	v_pack_b32_f16 v2, v8, v6
	ds_write_b32 v0, v2 offset:2592
	;; [unrolled: 2-line block ×3, first 2 shown]
.LBB0_41:
	s_or_b64 exec, exec, s[4:5]
	s_waitcnt lgkmcnt(0)
	s_barrier
	ds_read2_b32 v[2:3], v0 offset1:243
	s_mov_b32 s4, 0x40e53dbc
	s_mov_b32 s5, 0x3f4af834
	v_mad_u64_u32 v[6:7], s[0:1], s10, v1, 0
	s_waitcnt lgkmcnt(0)
	v_lshrrev_b32_e32 v9, 16, v2
	v_mul_f16_sdwa v4, v27, v9 dst_sel:DWORD dst_unused:UNUSED_PAD src0_sel:WORD_1 src1_sel:DWORD
	v_fma_f16 v4, v27, v2, v4
	v_cvt_f32_f16_e32 v4, v4
	s_movk_i32 s6, 0x1ff
	v_mad_u64_u32 v[7:8], s[0:1], s11, v1, v[7:8]
	v_cvt_f64_f32_e32 v[4:5], v4
	s_movk_i32 s7, 0xffe
	v_mul_f16_sdwa v2, v27, v2 dst_sel:DWORD dst_unused:UNUSED_PAD src0_sel:WORD_1 src1_sel:DWORD
	v_fma_f16 v2, v27, v9, -v2
	v_mul_f64 v[4:5], v[4:5], s[4:5]
	v_cvt_f32_f16_e32 v2, v2
	s_movk_i32 s10, 0x40f
	s_mov_b32 s11, 0x8000
	v_lshlrev_b64 v[6:7], 2, v[6:7]
	v_and_or_b32 v1, v5, s6, v4
	v_cmp_ne_u32_e32 vcc, 0, v1
	v_lshrrev_b32_e32 v4, 8, v5
	v_bfe_u32 v8, v5, 20, 11
	v_cndmask_b32_e64 v1, 0, 1, vcc
	v_sub_u32_e32 v10, 0x3f1, v8
	v_and_or_b32 v4, v4, s7, v1
	v_or_b32_e32 v1, 0x1000, v4
	v_med3_i32 v10, v10, 0, 13
	v_lshrrev_b32_e32 v11, v10, v1
	v_lshlrev_b32_e32 v10, v10, v11
	v_cmp_ne_u32_e32 vcc, v10, v1
	v_cndmask_b32_e64 v1, 0, 1, vcc
	v_add_u32_e32 v10, 0xfffffc10, v8
	v_or_b32_e32 v1, v11, v1
	v_lshl_or_b32 v8, v10, 12, v4
	v_cmp_gt_i32_e32 vcc, 1, v10
	v_cndmask_b32_e32 v1, v8, v1, vcc
	v_and_b32_e32 v8, 7, v1
	v_cmp_lt_i32_e32 vcc, 5, v8
	v_cmp_eq_u32_e64 s[0:1], 3, v8
	v_cvt_f64_f32_e32 v[8:9], v2
	v_lshrrev_b32_e32 v1, 2, v1
	s_or_b64 vcc, s[0:1], vcc
	v_addc_co_u32_e32 v11, vcc, 0, v1, vcc
	v_mul_f64 v[8:9], v[8:9], s[4:5]
	v_mov_b32_e32 v1, 0x7c00
	v_cmp_gt_i32_e32 vcc, 31, v10
	v_cndmask_b32_e32 v2, v1, v11, vcc
	v_cmp_ne_u32_e32 vcc, 0, v4
	v_cndmask_b32_e64 v4, 0, 1, vcc
	v_lshl_or_b32 v4, v4, 9, v1
	v_cmp_eq_u32_e32 vcc, s10, v10
	v_cndmask_b32_e32 v2, v2, v4, vcc
	v_lshrrev_b32_e32 v4, 16, v5
	v_and_or_b32 v10, v4, s11, v2
	v_and_or_b32 v2, v9, s6, v8
	v_cmp_ne_u32_e32 vcc, 0, v2
	v_cndmask_b32_e64 v2, 0, 1, vcc
	v_lshrrev_b32_e32 v4, 8, v9
	v_bfe_u32 v5, v9, 20, 11
	v_and_or_b32 v2, v4, s7, v2
	v_sub_u32_e32 v8, 0x3f1, v5
	v_or_b32_e32 v4, 0x1000, v2
	v_med3_i32 v8, v8, 0, 13
	v_lshrrev_b32_e32 v11, v8, v4
	v_lshlrev_b32_e32 v8, v8, v11
	v_cmp_ne_u32_e32 vcc, v8, v4
	v_cndmask_b32_e64 v4, 0, 1, vcc
	v_add_u32_e32 v8, 0xfffffc10, v5
	v_or_b32_e32 v4, v11, v4
	v_lshl_or_b32 v5, v8, 12, v2
	v_cmp_gt_i32_e32 vcc, 1, v8
	v_cndmask_b32_e32 v4, v5, v4, vcc
	v_and_b32_e32 v5, 7, v4
	v_cmp_lt_i32_e32 vcc, 5, v5
	v_cmp_eq_u32_e64 s[0:1], 3, v5
	v_lshrrev_b32_e32 v4, 2, v4
	s_or_b64 vcc, s[0:1], vcc
	v_addc_co_u32_e32 v4, vcc, 0, v4, vcc
	v_cmp_gt_i32_e32 vcc, 31, v8
	v_cndmask_b32_e32 v11, v1, v4, vcc
	v_mad_u64_u32 v[4:5], s[0:1], s8, v26, 0
	v_cmp_ne_u32_e32 vcc, 0, v2
	v_cndmask_b32_e64 v2, 0, 1, vcc
	v_lshl_or_b32 v2, v2, 9, v1
	v_cmp_eq_u32_e32 vcc, s10, v8
	v_cndmask_b32_e32 v11, v11, v2, vcc
	v_mov_b32_e32 v2, v5
	v_lshrrev_b32_e32 v12, 16, v9
	v_mad_u64_u32 v[8:9], s[0:1], s9, v26, v[2:3]
	v_lshrrev_b32_e32 v2, 16, v3
	v_mul_f16_sdwa v5, v25, v2 dst_sel:DWORD dst_unused:UNUSED_PAD src0_sel:WORD_1 src1_sel:DWORD
	v_fma_f16 v5, v25, v3, v5
	v_cvt_f32_f16_e32 v9, v5
	v_mov_b32_e32 v5, v8
	v_and_or_b32 v11, v12, s11, v11
	v_and_b32_e32 v10, 0xffff, v10
	v_cvt_f64_f32_e32 v[8:9], v9
	v_lshl_or_b32 v10, v11, 16, v10
	v_mov_b32_e32 v11, s3
	v_add_co_u32_e32 v6, vcc, s2, v6
	v_mul_f64 v[8:9], v[8:9], s[4:5]
	v_lshlrev_b64 v[4:5], 2, v[4:5]
	v_addc_co_u32_e32 v7, vcc, v11, v7, vcc
	v_add_co_u32_e32 v4, vcc, v6, v4
	v_addc_co_u32_e32 v5, vcc, v7, v5, vcc
	v_and_or_b32 v6, v9, s6, v8
	v_mul_f16_sdwa v3, v25, v3 dst_sel:DWORD dst_unused:UNUSED_PAD src0_sel:WORD_1 src1_sel:DWORD
	v_cmp_ne_u32_e32 vcc, 0, v6
	v_fma_f16 v2, v25, v2, -v3
	v_cndmask_b32_e64 v6, 0, 1, vcc
	v_lshrrev_b32_e32 v7, 8, v9
	v_bfe_u32 v8, v9, 20, 11
	v_cvt_f32_f16_e32 v2, v2
	global_store_dword v[4:5], v10, off
	v_and_or_b32 v6, v7, s7, v6
	v_sub_u32_e32 v10, 0x3f1, v8
	v_or_b32_e32 v7, 0x1000, v6
	v_med3_i32 v10, v10, 0, 13
	v_lshrrev_b32_e32 v11, v10, v7
	v_lshlrev_b32_e32 v10, v10, v11
	v_cvt_f64_f32_e32 v[2:3], v2
	v_cmp_ne_u32_e32 vcc, v10, v7
	v_cndmask_b32_e64 v7, 0, 1, vcc
	v_add_u32_e32 v8, 0xfffffc10, v8
	v_or_b32_e32 v7, v11, v7
	v_lshl_or_b32 v10, v8, 12, v6
	v_cmp_gt_i32_e32 vcc, 1, v8
	v_cndmask_b32_e32 v7, v10, v7, vcc
	v_mul_f64 v[2:3], v[2:3], s[4:5]
	v_and_b32_e32 v10, 7, v7
	v_cmp_lt_i32_e32 vcc, 5, v10
	v_cmp_eq_u32_e64 s[0:1], 3, v10
	v_lshrrev_b32_e32 v7, 2, v7
	s_or_b64 vcc, s[0:1], vcc
	v_addc_co_u32_e32 v7, vcc, 0, v7, vcc
	v_cmp_gt_i32_e32 vcc, 31, v8
	v_cndmask_b32_e32 v7, v1, v7, vcc
	v_cmp_ne_u32_e32 vcc, 0, v6
	v_cndmask_b32_e64 v6, 0, 1, vcc
	v_lshl_or_b32 v6, v6, 9, v1
	v_cmp_eq_u32_e32 vcc, s10, v8
	v_and_or_b32 v2, v3, s6, v2
	v_cndmask_b32_e32 v6, v7, v6, vcc
	v_lshrrev_b32_e32 v7, 16, v9
	v_cmp_ne_u32_e32 vcc, 0, v2
	v_and_or_b32 v8, v7, s11, v6
	v_cndmask_b32_e64 v2, 0, 1, vcc
	v_lshrrev_b32_e32 v6, 8, v3
	v_bfe_u32 v7, v3, 20, 11
	v_and_or_b32 v2, v6, s7, v2
	v_sub_u32_e32 v9, 0x3f1, v7
	v_or_b32_e32 v6, 0x1000, v2
	v_med3_i32 v9, v9, 0, 13
	v_lshrrev_b32_e32 v10, v9, v6
	v_lshlrev_b32_e32 v9, v9, v10
	v_cmp_ne_u32_e32 vcc, v9, v6
	v_cndmask_b32_e64 v6, 0, 1, vcc
	v_add_u32_e32 v9, 0xfffffc10, v7
	v_or_b32_e32 v6, v10, v6
	v_lshl_or_b32 v7, v9, 12, v2
	v_cmp_gt_i32_e32 vcc, 1, v9
	v_cndmask_b32_e32 v6, v7, v6, vcc
	v_and_b32_e32 v7, 7, v6
	v_cmp_lt_i32_e32 vcc, 5, v7
	v_cmp_eq_u32_e64 s[0:1], 3, v7
	v_lshrrev_b32_e32 v6, 2, v6
	s_or_b64 vcc, s[0:1], vcc
	v_addc_co_u32_e32 v6, vcc, 0, v6, vcc
	v_cmp_gt_i32_e32 vcc, 31, v9
	v_cndmask_b32_e32 v10, v1, v6, vcc
	v_add_u32_e32 v6, 0x780, v0
	ds_read2_b32 v[6:7], v6 offset0:6 offset1:249
	v_cmp_ne_u32_e32 vcc, 0, v2
	v_cndmask_b32_e64 v2, 0, 1, vcc
	v_lshl_or_b32 v2, v2, 9, v1
	v_cmp_eq_u32_e32 vcc, s10, v9
	s_waitcnt lgkmcnt(0)
	v_lshrrev_b32_e32 v9, 16, v6
	v_cndmask_b32_e32 v2, v10, v2, vcc
	v_mul_f16_sdwa v10, v24, v9 dst_sel:DWORD dst_unused:UNUSED_PAD src0_sel:WORD_1 src1_sel:DWORD
	v_fma_f16 v10, v24, v6, v10
	v_cvt_f32_f16_e32 v10, v10
	v_lshrrev_b32_e32 v3, 16, v3
	v_and_or_b32 v2, v3, s11, v2
	v_and_b32_e32 v3, 0xffff, v8
	v_lshl_or_b32 v8, v2, 16, v3
	v_cvt_f64_f32_e32 v[2:3], v10
	s_mul_i32 s0, s9, 0x3cc
	s_mul_hi_u32 s2, s8, 0x3cc
	s_add_i32 s2, s2, s0
	v_mul_f64 v[2:3], v[2:3], s[4:5]
	s_mul_i32 s3, s8, 0x3cc
	v_mov_b32_e32 v10, s2
	v_add_co_u32_e32 v4, vcc, s3, v4
	v_addc_co_u32_e32 v5, vcc, v5, v10, vcc
	global_store_dword v[4:5], v8, off
	v_and_or_b32 v2, v3, s6, v2
	v_cmp_ne_u32_e32 vcc, 0, v2
	v_cndmask_b32_e64 v2, 0, 1, vcc
	v_lshrrev_b32_e32 v8, 8, v3
	v_bfe_u32 v10, v3, 20, 11
	v_and_or_b32 v2, v8, s7, v2
	v_sub_u32_e32 v11, 0x3f1, v10
	v_or_b32_e32 v8, 0x1000, v2
	v_med3_i32 v11, v11, 0, 13
	v_lshrrev_b32_e32 v12, v11, v8
	v_lshlrev_b32_e32 v11, v11, v12
	v_mul_f16_sdwa v6, v24, v6 dst_sel:DWORD dst_unused:UNUSED_PAD src0_sel:WORD_1 src1_sel:DWORD
	v_cmp_ne_u32_e32 vcc, v11, v8
	v_fma_f16 v6, v24, v9, -v6
	v_cndmask_b32_e64 v8, 0, 1, vcc
	v_add_u32_e32 v10, 0xfffffc10, v10
	v_cvt_f32_f16_e32 v6, v6
	v_or_b32_e32 v8, v12, v8
	v_lshl_or_b32 v11, v10, 12, v2
	v_cmp_gt_i32_e32 vcc, 1, v10
	v_cndmask_b32_e32 v8, v11, v8, vcc
	v_and_b32_e32 v11, 7, v8
	v_cmp_lt_i32_e32 vcc, 5, v11
	v_cmp_eq_u32_e64 s[0:1], 3, v11
	v_lshrrev_b32_e32 v11, 2, v8
	v_cvt_f64_f32_e32 v[8:9], v6
	s_or_b64 vcc, s[0:1], vcc
	v_addc_co_u32_e32 v6, vcc, 0, v11, vcc
	v_mul_f64 v[8:9], v[8:9], s[4:5]
	v_cmp_gt_i32_e32 vcc, 31, v10
	v_cndmask_b32_e32 v6, v1, v6, vcc
	v_cmp_ne_u32_e32 vcc, 0, v2
	v_cndmask_b32_e64 v2, 0, 1, vcc
	v_lshl_or_b32 v2, v2, 9, v1
	v_cmp_eq_u32_e32 vcc, s10, v10
	v_cndmask_b32_e32 v2, v6, v2, vcc
	v_lshrrev_b32_e32 v3, 16, v3
	v_and_or_b32 v6, v3, s11, v2
	v_and_or_b32 v2, v9, s6, v8
	v_cmp_ne_u32_e32 vcc, 0, v2
	v_cndmask_b32_e64 v2, 0, 1, vcc
	v_lshrrev_b32_e32 v3, 8, v9
	v_bfe_u32 v8, v9, 20, 11
	v_and_or_b32 v2, v3, s7, v2
	v_sub_u32_e32 v10, 0x3f1, v8
	v_or_b32_e32 v3, 0x1000, v2
	v_med3_i32 v10, v10, 0, 13
	v_lshrrev_b32_e32 v11, v10, v3
	v_lshlrev_b32_e32 v10, v10, v11
	v_cmp_ne_u32_e32 vcc, v10, v3
	v_cndmask_b32_e64 v3, 0, 1, vcc
	v_add_u32_e32 v8, 0xfffffc10, v8
	v_or_b32_e32 v3, v11, v3
	v_lshl_or_b32 v10, v8, 12, v2
	v_cmp_gt_i32_e32 vcc, 1, v8
	v_cndmask_b32_e32 v3, v10, v3, vcc
	v_and_b32_e32 v10, 7, v3
	v_cmp_lt_i32_e32 vcc, 5, v10
	v_cmp_eq_u32_e64 s[0:1], 3, v10
	v_lshrrev_b32_e32 v10, 16, v7
	v_lshrrev_b32_e32 v3, 2, v3
	s_or_b64 vcc, s[0:1], vcc
	v_mul_f16_sdwa v11, v23, v10 dst_sel:DWORD dst_unused:UNUSED_PAD src0_sel:WORD_1 src1_sel:DWORD
	v_addc_co_u32_e32 v3, vcc, 0, v3, vcc
	v_fma_f16 v11, v23, v7, v11
	v_cmp_gt_i32_e32 vcc, 31, v8
	v_cvt_f32_f16_e32 v11, v11
	v_cndmask_b32_e32 v3, v1, v3, vcc
	v_cmp_ne_u32_e32 vcc, 0, v2
	v_cndmask_b32_e64 v2, 0, 1, vcc
	v_lshl_or_b32 v2, v2, 9, v1
	v_cmp_eq_u32_e32 vcc, s10, v8
	v_cndmask_b32_e32 v8, v3, v2, vcc
	v_cvt_f64_f32_e32 v[2:3], v11
	v_lshrrev_b32_e32 v9, 16, v9
	v_and_or_b32 v8, v9, s11, v8
	v_and_b32_e32 v6, 0xffff, v6
	v_mul_f64 v[2:3], v[2:3], s[4:5]
	v_lshl_or_b32 v6, v8, 16, v6
	v_mov_b32_e32 v8, s2
	v_add_co_u32_e32 v4, vcc, s3, v4
	v_addc_co_u32_e32 v5, vcc, v5, v8, vcc
	global_store_dword v[4:5], v6, off
	v_and_or_b32 v2, v3, s6, v2
	v_cmp_ne_u32_e32 vcc, 0, v2
	v_cndmask_b32_e64 v2, 0, 1, vcc
	v_lshrrev_b32_e32 v6, 8, v3
	v_bfe_u32 v8, v3, 20, 11
	v_and_or_b32 v2, v6, s7, v2
	v_sub_u32_e32 v9, 0x3f1, v8
	v_or_b32_e32 v6, 0x1000, v2
	v_med3_i32 v9, v9, 0, 13
	v_lshrrev_b32_e32 v11, v9, v6
	v_lshlrev_b32_e32 v9, v9, v11
	v_mul_f16_sdwa v7, v23, v7 dst_sel:DWORD dst_unused:UNUSED_PAD src0_sel:WORD_1 src1_sel:DWORD
	v_cmp_ne_u32_e32 vcc, v9, v6
	v_fma_f16 v7, v23, v10, -v7
	v_cndmask_b32_e64 v6, 0, 1, vcc
	v_add_u32_e32 v8, 0xfffffc10, v8
	v_cvt_f32_f16_e32 v7, v7
	v_or_b32_e32 v6, v11, v6
	v_lshl_or_b32 v9, v8, 12, v2
	v_cmp_gt_i32_e32 vcc, 1, v8
	v_cndmask_b32_e32 v6, v9, v6, vcc
	v_and_b32_e32 v9, 7, v6
	v_cmp_lt_i32_e32 vcc, 5, v9
	v_cmp_eq_u32_e64 s[0:1], 3, v9
	v_lshrrev_b32_e32 v9, 2, v6
	v_cvt_f64_f32_e32 v[6:7], v7
	s_or_b64 vcc, s[0:1], vcc
	v_addc_co_u32_e32 v9, vcc, 0, v9, vcc
	v_mul_f64 v[6:7], v[6:7], s[4:5]
	v_cmp_gt_i32_e32 vcc, 31, v8
	v_cndmask_b32_e32 v9, v1, v9, vcc
	v_cmp_ne_u32_e32 vcc, 0, v2
	v_cndmask_b32_e64 v2, 0, 1, vcc
	v_lshl_or_b32 v2, v2, 9, v1
	v_cmp_eq_u32_e32 vcc, s10, v8
	v_cndmask_b32_e32 v2, v9, v2, vcc
	v_lshrrev_b32_e32 v3, 16, v3
	v_and_or_b32 v8, v3, s11, v2
	v_and_or_b32 v2, v7, s6, v6
	v_cmp_ne_u32_e32 vcc, 0, v2
	v_cndmask_b32_e64 v2, 0, 1, vcc
	v_lshrrev_b32_e32 v3, 8, v7
	v_bfe_u32 v6, v7, 20, 11
	v_and_or_b32 v2, v3, s7, v2
	v_sub_u32_e32 v9, 0x3f1, v6
	v_or_b32_e32 v3, 0x1000, v2
	v_med3_i32 v9, v9, 0, 13
	v_lshrrev_b32_e32 v10, v9, v3
	v_lshlrev_b32_e32 v9, v9, v10
	v_cmp_ne_u32_e32 vcc, v9, v3
	ds_read_b32 v0, v0 offset:3888
	v_cndmask_b32_e64 v3, 0, 1, vcc
	v_add_u32_e32 v6, 0xfffffc10, v6
	v_or_b32_e32 v3, v10, v3
	v_lshl_or_b32 v9, v6, 12, v2
	v_cmp_gt_i32_e32 vcc, 1, v6
	v_cndmask_b32_e32 v3, v9, v3, vcc
	v_and_b32_e32 v9, 7, v3
	v_cmp_lt_i32_e32 vcc, 5, v9
	v_cmp_eq_u32_e64 s[0:1], 3, v9
	s_waitcnt lgkmcnt(0)
	v_lshrrev_b32_e32 v9, 16, v0
	v_lshrrev_b32_e32 v3, 2, v3
	s_or_b64 vcc, s[0:1], vcc
	v_mul_f16_sdwa v10, v22, v9 dst_sel:DWORD dst_unused:UNUSED_PAD src0_sel:WORD_1 src1_sel:DWORD
	v_addc_co_u32_e32 v3, vcc, 0, v3, vcc
	v_fma_f16 v10, v22, v0, v10
	v_cmp_gt_i32_e32 vcc, 31, v6
	v_cvt_f32_f16_e32 v10, v10
	v_cndmask_b32_e32 v3, v1, v3, vcc
	v_cmp_ne_u32_e32 vcc, 0, v2
	v_cndmask_b32_e64 v2, 0, 1, vcc
	v_lshl_or_b32 v2, v2, 9, v1
	v_cmp_eq_u32_e32 vcc, s10, v6
	v_cndmask_b32_e32 v6, v3, v2, vcc
	v_cvt_f64_f32_e32 v[2:3], v10
	v_lshrrev_b32_e32 v7, 16, v7
	v_and_or_b32 v6, v7, s11, v6
	v_and_b32_e32 v7, 0xffff, v8
	v_mul_f64 v[2:3], v[2:3], s[4:5]
	v_lshl_or_b32 v6, v6, 16, v7
	v_mov_b32_e32 v7, s2
	v_add_co_u32_e32 v4, vcc, s3, v4
	v_addc_co_u32_e32 v5, vcc, v5, v7, vcc
	global_store_dword v[4:5], v6, off
	v_and_or_b32 v2, v3, s6, v2
	v_cmp_ne_u32_e32 vcc, 0, v2
	v_cndmask_b32_e64 v2, 0, 1, vcc
	v_lshrrev_b32_e32 v6, 8, v3
	v_bfe_u32 v7, v3, 20, 11
	v_and_or_b32 v2, v6, s7, v2
	v_sub_u32_e32 v8, 0x3f1, v7
	v_or_b32_e32 v6, 0x1000, v2
	v_med3_i32 v8, v8, 0, 13
	v_lshrrev_b32_e32 v10, v8, v6
	v_lshlrev_b32_e32 v8, v8, v10
	v_mul_f16_sdwa v0, v22, v0 dst_sel:DWORD dst_unused:UNUSED_PAD src0_sel:WORD_1 src1_sel:DWORD
	v_cmp_ne_u32_e32 vcc, v8, v6
	v_fma_f16 v0, v22, v9, -v0
	v_cndmask_b32_e64 v6, 0, 1, vcc
	v_add_u32_e32 v8, 0xfffffc10, v7
	v_cvt_f32_f16_e32 v0, v0
	v_or_b32_e32 v6, v10, v6
	v_lshl_or_b32 v7, v8, 12, v2
	v_cmp_gt_i32_e32 vcc, 1, v8
	v_cndmask_b32_e32 v6, v7, v6, vcc
	v_and_b32_e32 v7, 7, v6
	v_cmp_lt_i32_e32 vcc, 5, v7
	v_cmp_eq_u32_e64 s[0:1], 3, v7
	v_lshrrev_b32_e32 v9, 2, v6
	v_cvt_f64_f32_e32 v[6:7], v0
	s_or_b64 vcc, s[0:1], vcc
	v_addc_co_u32_e32 v0, vcc, 0, v9, vcc
	v_mul_f64 v[6:7], v[6:7], s[4:5]
	v_cmp_gt_i32_e32 vcc, 31, v8
	v_cndmask_b32_e32 v0, v1, v0, vcc
	v_cmp_ne_u32_e32 vcc, 0, v2
	v_cndmask_b32_e64 v2, 0, 1, vcc
	v_lshl_or_b32 v2, v2, 9, v1
	v_cmp_eq_u32_e32 vcc, s10, v8
	v_cndmask_b32_e32 v0, v0, v2, vcc
	v_lshrrev_b32_e32 v2, 16, v3
	v_and_or_b32 v0, v2, s11, v0
	v_and_or_b32 v2, v7, s6, v6
	v_cmp_ne_u32_e32 vcc, 0, v2
	v_cndmask_b32_e64 v2, 0, 1, vcc
	v_lshrrev_b32_e32 v3, 8, v7
	v_bfe_u32 v6, v7, 20, 11
	v_and_or_b32 v2, v3, s7, v2
	v_sub_u32_e32 v8, 0x3f1, v6
	v_or_b32_e32 v3, 0x1000, v2
	v_med3_i32 v8, v8, 0, 13
	v_lshrrev_b32_e32 v9, v8, v3
	v_lshlrev_b32_e32 v8, v8, v9
	v_cmp_ne_u32_e32 vcc, v8, v3
	v_cndmask_b32_e64 v3, 0, 1, vcc
	v_add_u32_e32 v6, 0xfffffc10, v6
	v_or_b32_e32 v3, v9, v3
	v_lshl_or_b32 v8, v6, 12, v2
	v_cmp_gt_i32_e32 vcc, 1, v6
	v_cndmask_b32_e32 v3, v8, v3, vcc
	v_and_b32_e32 v8, 7, v3
	v_cmp_lt_i32_e32 vcc, 5, v8
	v_cmp_eq_u32_e64 s[0:1], 3, v8
	v_lshrrev_b32_e32 v3, 2, v3
	s_or_b64 vcc, s[0:1], vcc
	v_addc_co_u32_e32 v3, vcc, 0, v3, vcc
	v_cmp_gt_i32_e32 vcc, 31, v6
	v_cndmask_b32_e32 v3, v1, v3, vcc
	v_cmp_ne_u32_e32 vcc, 0, v2
	v_cndmask_b32_e64 v2, 0, 1, vcc
	v_lshl_or_b32 v1, v2, 9, v1
	v_cmp_eq_u32_e32 vcc, s10, v6
	v_cndmask_b32_e32 v1, v3, v1, vcc
	v_lshrrev_b32_e32 v2, 16, v7
	v_and_or_b32 v1, v2, s11, v1
	v_and_b32_e32 v0, 0xffff, v0
	v_lshl_or_b32 v2, v1, 16, v0
	v_mov_b32_e32 v1, s2
	v_add_co_u32_e32 v0, vcc, s3, v4
	v_addc_co_u32_e32 v1, vcc, v5, v1, vcc
	global_store_dword v[0:1], v2, off
.LBB0_42:
	s_endpgm
	.section	.rodata,"a",@progbits
	.p2align	6, 0x0
	.amdhsa_kernel bluestein_single_fwd_len1215_dim1_half_op_CI_CI
		.amdhsa_group_segment_fixed_size 4860
		.amdhsa_private_segment_fixed_size 0
		.amdhsa_kernarg_size 104
		.amdhsa_user_sgpr_count 6
		.amdhsa_user_sgpr_private_segment_buffer 1
		.amdhsa_user_sgpr_dispatch_ptr 0
		.amdhsa_user_sgpr_queue_ptr 0
		.amdhsa_user_sgpr_kernarg_segment_ptr 1
		.amdhsa_user_sgpr_dispatch_id 0
		.amdhsa_user_sgpr_flat_scratch_init 0
		.amdhsa_user_sgpr_private_segment_size 0
		.amdhsa_uses_dynamic_stack 0
		.amdhsa_system_sgpr_private_segment_wavefront_offset 0
		.amdhsa_system_sgpr_workgroup_id_x 1
		.amdhsa_system_sgpr_workgroup_id_y 0
		.amdhsa_system_sgpr_workgroup_id_z 0
		.amdhsa_system_sgpr_workgroup_info 0
		.amdhsa_system_vgpr_workitem_id 0
		.amdhsa_next_free_vgpr 58
		.amdhsa_next_free_sgpr 20
		.amdhsa_reserve_vcc 1
		.amdhsa_reserve_flat_scratch 0
		.amdhsa_float_round_mode_32 0
		.amdhsa_float_round_mode_16_64 0
		.amdhsa_float_denorm_mode_32 3
		.amdhsa_float_denorm_mode_16_64 3
		.amdhsa_dx10_clamp 1
		.amdhsa_ieee_mode 1
		.amdhsa_fp16_overflow 0
		.amdhsa_exception_fp_ieee_invalid_op 0
		.amdhsa_exception_fp_denorm_src 0
		.amdhsa_exception_fp_ieee_div_zero 0
		.amdhsa_exception_fp_ieee_overflow 0
		.amdhsa_exception_fp_ieee_underflow 0
		.amdhsa_exception_fp_ieee_inexact 0
		.amdhsa_exception_int_div_zero 0
	.end_amdhsa_kernel
	.text
.Lfunc_end0:
	.size	bluestein_single_fwd_len1215_dim1_half_op_CI_CI, .Lfunc_end0-bluestein_single_fwd_len1215_dim1_half_op_CI_CI
                                        ; -- End function
	.section	.AMDGPU.csdata,"",@progbits
; Kernel info:
; codeLenInByte = 10296
; NumSgprs: 24
; NumVgprs: 58
; ScratchSize: 0
; MemoryBound: 0
; FloatMode: 240
; IeeeMode: 1
; LDSByteSize: 4860 bytes/workgroup (compile time only)
; SGPRBlocks: 2
; VGPRBlocks: 14
; NumSGPRsForWavesPerEU: 24
; NumVGPRsForWavesPerEU: 58
; Occupancy: 4
; WaveLimiterHint : 1
; COMPUTE_PGM_RSRC2:SCRATCH_EN: 0
; COMPUTE_PGM_RSRC2:USER_SGPR: 6
; COMPUTE_PGM_RSRC2:TRAP_HANDLER: 0
; COMPUTE_PGM_RSRC2:TGID_X_EN: 1
; COMPUTE_PGM_RSRC2:TGID_Y_EN: 0
; COMPUTE_PGM_RSRC2:TGID_Z_EN: 0
; COMPUTE_PGM_RSRC2:TIDIG_COMP_CNT: 0
	.type	__hip_cuid_b6f9f3bd93ea209f,@object ; @__hip_cuid_b6f9f3bd93ea209f
	.section	.bss,"aw",@nobits
	.globl	__hip_cuid_b6f9f3bd93ea209f
__hip_cuid_b6f9f3bd93ea209f:
	.byte	0                               ; 0x0
	.size	__hip_cuid_b6f9f3bd93ea209f, 1

	.ident	"AMD clang version 19.0.0git (https://github.com/RadeonOpenCompute/llvm-project roc-6.4.0 25133 c7fe45cf4b819c5991fe208aaa96edf142730f1d)"
	.section	".note.GNU-stack","",@progbits
	.addrsig
	.addrsig_sym __hip_cuid_b6f9f3bd93ea209f
	.amdgpu_metadata
---
amdhsa.kernels:
  - .args:
      - .actual_access:  read_only
        .address_space:  global
        .offset:         0
        .size:           8
        .value_kind:     global_buffer
      - .actual_access:  read_only
        .address_space:  global
        .offset:         8
        .size:           8
        .value_kind:     global_buffer
      - .actual_access:  read_only
        .address_space:  global
        .offset:         16
        .size:           8
        .value_kind:     global_buffer
      - .actual_access:  read_only
        .address_space:  global
        .offset:         24
        .size:           8
        .value_kind:     global_buffer
      - .actual_access:  read_only
        .address_space:  global
        .offset:         32
        .size:           8
        .value_kind:     global_buffer
      - .offset:         40
        .size:           8
        .value_kind:     by_value
      - .address_space:  global
        .offset:         48
        .size:           8
        .value_kind:     global_buffer
      - .address_space:  global
        .offset:         56
        .size:           8
        .value_kind:     global_buffer
      - .address_space:  global
        .offset:         64
        .size:           8
        .value_kind:     global_buffer
      - .address_space:  global
        .offset:         72
        .size:           8
        .value_kind:     global_buffer
      - .offset:         80
        .size:           4
        .value_kind:     by_value
      - .address_space:  global
        .offset:         88
        .size:           8
        .value_kind:     global_buffer
      - .address_space:  global
        .offset:         96
        .size:           8
        .value_kind:     global_buffer
    .group_segment_fixed_size: 4860
    .kernarg_segment_align: 8
    .kernarg_segment_size: 104
    .language:       OpenCL C
    .language_version:
      - 2
      - 0
    .max_flat_workgroup_size: 243
    .name:           bluestein_single_fwd_len1215_dim1_half_op_CI_CI
    .private_segment_fixed_size: 0
    .sgpr_count:     24
    .sgpr_spill_count: 0
    .symbol:         bluestein_single_fwd_len1215_dim1_half_op_CI_CI.kd
    .uniform_work_group_size: 1
    .uses_dynamic_stack: false
    .vgpr_count:     58
    .vgpr_spill_count: 0
    .wavefront_size: 64
amdhsa.target:   amdgcn-amd-amdhsa--gfx906
amdhsa.version:
  - 1
  - 2
...

	.end_amdgpu_metadata
